;; amdgpu-corpus repo=zjin-lcf/HeCBench kind=compiled arch=gfx90a opt=O3
	.text
	.amdgcn_target "amdgcn-amd-amdhsa--gfx90a"
	.amdhsa_code_object_version 6
	.protected	_Z18processRwmanFaninsPiS_S_ii ; -- Begin function _Z18processRwmanFaninsPiS_S_ii
	.globl	_Z18processRwmanFaninsPiS_S_ii
	.p2align	8
	.type	_Z18processRwmanFaninsPiS_S_ii,@function
_Z18processRwmanFaninsPiS_S_ii:         ; @_Z18processRwmanFaninsPiS_S_ii
; %bb.0:
	s_load_dword s0, s[4:5], 0x2c
	s_load_dwordx2 s[8:9], s[4:5], 0x18
	s_waitcnt lgkmcnt(0)
	s_and_b32 s0, s0, 0xffff
	s_mul_i32 s6, s6, s0
	v_add_u32_e32 v0, s6, v0
	v_cmp_gt_i32_e32 vcc, s9, v0
	s_and_saveexec_b64 s[0:1], vcc
	s_cbranch_execz .LBB0_6
; %bb.1:
	s_load_dwordx4 s[0:3], s[4:5], 0x0
	s_load_dwordx2 s[6:7], s[4:5], 0x10
	v_add3_u32 v0, s8, 1, v0
	v_ashrrev_i32_e32 v1, 31, v0
	v_lshlrev_b64 v[2:3], 2, v[0:1]
	s_waitcnt lgkmcnt(0)
	v_mov_b32_e32 v1, s1
	v_add_co_u32_e32 v0, vcc, s0, v2
	v_addc_co_u32_e32 v1, vcc, v1, v3, vcc
	global_load_dword v4, v[0:1], off
	s_waitcnt vmcnt(0)
	v_cmp_gt_i32_e32 vcc, 2, v4
	s_and_saveexec_b64 s[0:1], vcc
	s_cbranch_execz .LBB0_3
; %bb.2:
	v_sub_u32_e32 v4, 1, v4
	global_store_dword v[0:1], v4, off
.LBB0_3:
	s_or_b64 exec, exec, s[0:1]
	v_mov_b32_e32 v5, s3
	v_add_co_u32_e32 v2, vcc, s2, v2
	v_addc_co_u32_e32 v3, vcc, v5, v3, vcc
	global_load_dword v5, v[2:3], off
	s_waitcnt vmcnt(0)
	v_cmp_gt_i32_e32 vcc, 2, v5
	s_and_saveexec_b64 s[0:1], vcc
	s_cbranch_execz .LBB0_5
; %bb.4:
	v_sub_u32_e32 v4, 1, v5
	global_store_dword v[2:3], v4, off
	global_load_dword v4, v[0:1], off
.LBB0_5:
	s_or_b64 exec, exec, s[0:1]
	s_waitcnt vmcnt(0)
	v_ashrrev_i32_e32 v0, 1, v4
	v_ashrrev_i32_e32 v1, 31, v0
	v_lshlrev_b64 v[0:1], 2, v[0:1]
	v_mov_b32_e32 v4, s7
	v_add_co_u32_e32 v0, vcc, s6, v0
	v_mov_b32_e32 v5, 1
	v_addc_co_u32_e32 v1, vcc, v4, v1, vcc
	global_atomic_add v[0:1], v5, off
	global_load_dword v0, v[2:3], off
	s_waitcnt vmcnt(0)
	v_ashrrev_i32_e32 v0, 1, v0
	v_ashrrev_i32_e32 v1, 31, v0
	v_lshlrev_b64 v[0:1], 2, v[0:1]
	v_add_co_u32_e32 v0, vcc, s6, v0
	v_addc_co_u32_e32 v1, vcc, v4, v1, vcc
	global_atomic_add v[0:1], v5, off
.LBB0_6:
	s_endpgm
	.section	.rodata,"a",@progbits
	.p2align	6, 0x0
	.amdhsa_kernel _Z18processRwmanFaninsPiS_S_ii
		.amdhsa_group_segment_fixed_size 0
		.amdhsa_private_segment_fixed_size 0
		.amdhsa_kernarg_size 288
		.amdhsa_user_sgpr_count 6
		.amdhsa_user_sgpr_private_segment_buffer 1
		.amdhsa_user_sgpr_dispatch_ptr 0
		.amdhsa_user_sgpr_queue_ptr 0
		.amdhsa_user_sgpr_kernarg_segment_ptr 1
		.amdhsa_user_sgpr_dispatch_id 0
		.amdhsa_user_sgpr_flat_scratch_init 0
		.amdhsa_user_sgpr_kernarg_preload_length 0
		.amdhsa_user_sgpr_kernarg_preload_offset 0
		.amdhsa_user_sgpr_private_segment_size 0
		.amdhsa_uses_dynamic_stack 0
		.amdhsa_system_sgpr_private_segment_wavefront_offset 0
		.amdhsa_system_sgpr_workgroup_id_x 1
		.amdhsa_system_sgpr_workgroup_id_y 0
		.amdhsa_system_sgpr_workgroup_id_z 0
		.amdhsa_system_sgpr_workgroup_info 0
		.amdhsa_system_vgpr_workitem_id 0
		.amdhsa_next_free_vgpr 6
		.amdhsa_next_free_sgpr 10
		.amdhsa_accum_offset 8
		.amdhsa_reserve_vcc 1
		.amdhsa_reserve_flat_scratch 0
		.amdhsa_float_round_mode_32 0
		.amdhsa_float_round_mode_16_64 0
		.amdhsa_float_denorm_mode_32 3
		.amdhsa_float_denorm_mode_16_64 3
		.amdhsa_dx10_clamp 1
		.amdhsa_ieee_mode 1
		.amdhsa_fp16_overflow 0
		.amdhsa_tg_split 0
		.amdhsa_exception_fp_ieee_invalid_op 0
		.amdhsa_exception_fp_denorm_src 0
		.amdhsa_exception_fp_ieee_div_zero 0
		.amdhsa_exception_fp_ieee_overflow 0
		.amdhsa_exception_fp_ieee_underflow 0
		.amdhsa_exception_fp_ieee_inexact 0
		.amdhsa_exception_int_div_zero 0
	.end_amdhsa_kernel
	.text
.Lfunc_end0:
	.size	_Z18processRwmanFaninsPiS_S_ii, .Lfunc_end0-_Z18processRwmanFaninsPiS_S_ii
                                        ; -- End function
	.section	.AMDGPU.csdata,"",@progbits
; Kernel info:
; codeLenInByte = 292
; NumSgprs: 14
; NumVgprs: 6
; NumAgprs: 0
; TotalNumVgprs: 6
; ScratchSize: 0
; MemoryBound: 0
; FloatMode: 240
; IeeeMode: 1
; LDSByteSize: 0 bytes/workgroup (compile time only)
; SGPRBlocks: 1
; VGPRBlocks: 0
; NumSGPRsForWavesPerEU: 14
; NumVGPRsForWavesPerEU: 6
; AccumOffset: 8
; Occupancy: 8
; WaveLimiterHint : 1
; COMPUTE_PGM_RSRC2:SCRATCH_EN: 0
; COMPUTE_PGM_RSRC2:USER_SGPR: 6
; COMPUTE_PGM_RSRC2:TRAP_HANDLER: 0
; COMPUTE_PGM_RSRC2:TGID_X_EN: 1
; COMPUTE_PGM_RSRC2:TGID_Y_EN: 0
; COMPUTE_PGM_RSRC2:TGID_Z_EN: 0
; COMPUTE_PGM_RSRC2:TIDIG_COMP_CNT: 0
; COMPUTE_PGM_RSRC3_GFX90A:ACCUM_OFFSET: 1
; COMPUTE_PGM_RSRC3_GFX90A:TG_SPLIT: 0
	.text
	.protected	_Z16processRwmanOutsPiS_i ; -- Begin function _Z16processRwmanOutsPiS_i
	.globl	_Z16processRwmanOutsPiS_i
	.p2align	8
	.type	_Z16processRwmanOutsPiS_i,@function
_Z16processRwmanOutsPiS_i:              ; @_Z16processRwmanOutsPiS_i
; %bb.0:
	s_load_dword s0, s[4:5], 0x24
	s_load_dword s1, s[4:5], 0x10
	s_waitcnt lgkmcnt(0)
	s_and_b32 s0, s0, 0xffff
	s_mul_i32 s6, s6, s0
	v_add_u32_e32 v0, s6, v0
	v_cmp_gt_i32_e32 vcc, s1, v0
	s_and_saveexec_b64 s[0:1], vcc
	s_cbranch_execz .LBB1_4
; %bb.1:
	s_load_dwordx4 s[0:3], s[4:5], 0x0
	v_ashrrev_i32_e32 v1, 31, v0
	v_lshlrev_b64 v[0:1], 2, v[0:1]
	s_waitcnt lgkmcnt(0)
	v_mov_b32_e32 v2, s1
	v_add_co_u32_e32 v0, vcc, s0, v0
	v_addc_co_u32_e32 v1, vcc, v2, v1, vcc
	global_load_dword v2, v[0:1], off
	s_waitcnt vmcnt(0)
	v_cmp_gt_i32_e32 vcc, 2, v2
	s_and_saveexec_b64 s[0:1], vcc
	s_cbranch_execz .LBB1_3
; %bb.2:
	v_sub_u32_e32 v2, 1, v2
	global_store_dword v[0:1], v2, off
.LBB1_3:
	s_or_b64 exec, exec, s[0:1]
	v_lshrrev_b32_e32 v0, 1, v2
	v_mov_b32_e32 v1, 0
	v_lshlrev_b64 v[0:1], 2, v[0:1]
	v_mov_b32_e32 v2, s3
	v_add_co_u32_e32 v0, vcc, s2, v0
	v_mov_b32_e32 v3, 1
	v_addc_co_u32_e32 v1, vcc, v2, v1, vcc
	global_atomic_add v[0:1], v3, off
.LBB1_4:
	s_endpgm
	.section	.rodata,"a",@progbits
	.p2align	6, 0x0
	.amdhsa_kernel _Z16processRwmanOutsPiS_i
		.amdhsa_group_segment_fixed_size 0
		.amdhsa_private_segment_fixed_size 0
		.amdhsa_kernarg_size 280
		.amdhsa_user_sgpr_count 6
		.amdhsa_user_sgpr_private_segment_buffer 1
		.amdhsa_user_sgpr_dispatch_ptr 0
		.amdhsa_user_sgpr_queue_ptr 0
		.amdhsa_user_sgpr_kernarg_segment_ptr 1
		.amdhsa_user_sgpr_dispatch_id 0
		.amdhsa_user_sgpr_flat_scratch_init 0
		.amdhsa_user_sgpr_kernarg_preload_length 0
		.amdhsa_user_sgpr_kernarg_preload_offset 0
		.amdhsa_user_sgpr_private_segment_size 0
		.amdhsa_uses_dynamic_stack 0
		.amdhsa_system_sgpr_private_segment_wavefront_offset 0
		.amdhsa_system_sgpr_workgroup_id_x 1
		.amdhsa_system_sgpr_workgroup_id_y 0
		.amdhsa_system_sgpr_workgroup_id_z 0
		.amdhsa_system_sgpr_workgroup_info 0
		.amdhsa_system_vgpr_workitem_id 0
		.amdhsa_next_free_vgpr 4
		.amdhsa_next_free_sgpr 7
		.amdhsa_accum_offset 4
		.amdhsa_reserve_vcc 1
		.amdhsa_reserve_flat_scratch 0
		.amdhsa_float_round_mode_32 0
		.amdhsa_float_round_mode_16_64 0
		.amdhsa_float_denorm_mode_32 3
		.amdhsa_float_denorm_mode_16_64 3
		.amdhsa_dx10_clamp 1
		.amdhsa_ieee_mode 1
		.amdhsa_fp16_overflow 0
		.amdhsa_tg_split 0
		.amdhsa_exception_fp_ieee_invalid_op 0
		.amdhsa_exception_fp_denorm_src 0
		.amdhsa_exception_fp_ieee_div_zero 0
		.amdhsa_exception_fp_ieee_overflow 0
		.amdhsa_exception_fp_ieee_underflow 0
		.amdhsa_exception_fp_ieee_inexact 0
		.amdhsa_exception_int_div_zero 0
	.end_amdhsa_kernel
	.text
.Lfunc_end1:
	.size	_Z16processRwmanOutsPiS_i, .Lfunc_end1-_Z16processRwmanOutsPiS_i
                                        ; -- End function
	.section	.AMDGPU.csdata,"",@progbits
; Kernel info:
; codeLenInByte = 168
; NumSgprs: 11
; NumVgprs: 4
; NumAgprs: 0
; TotalNumVgprs: 4
; ScratchSize: 0
; MemoryBound: 0
; FloatMode: 240
; IeeeMode: 1
; LDSByteSize: 0 bytes/workgroup (compile time only)
; SGPRBlocks: 1
; VGPRBlocks: 0
; NumSGPRsForWavesPerEU: 11
; NumVGPRsForWavesPerEU: 4
; AccumOffset: 4
; Occupancy: 8
; WaveLimiterHint : 0
; COMPUTE_PGM_RSRC2:SCRATCH_EN: 0
; COMPUTE_PGM_RSRC2:USER_SGPR: 6
; COMPUTE_PGM_RSRC2:TRAP_HANDLER: 0
; COMPUTE_PGM_RSRC2:TGID_X_EN: 1
; COMPUTE_PGM_RSRC2:TGID_Y_EN: 0
; COMPUTE_PGM_RSRC2:TGID_Z_EN: 0
; COMPUTE_PGM_RSRC2:TIDIG_COMP_CNT: 0
; COMPUTE_PGM_RSRC3_GFX90A:ACCUM_OFFSET: 0
; COMPUTE_PGM_RSRC3_GFX90A:TG_SPLIT: 0
	.text
	.p2align	2                               ; -- Begin function __ockl_printf_append_string_n
	.type	__ockl_printf_append_string_n,@function
__ockl_printf_append_string_n:          ; @__ockl_printf_append_string_n
; %bb.0:
	s_waitcnt vmcnt(0) expcnt(0) lgkmcnt(0)
	v_mov_b32_e32 v9, v3
	v_mov_b32_e32 v8, v2
	v_or_b32_e32 v2, 2, v0
	v_cmp_eq_u32_e32 vcc, 0, v6
	s_mov_b32 s22, 0
	v_cndmask_b32_e32 v3, v2, v0, vcc
	s_mov_b64 s[6:7], 0
	v_cmp_ne_u64_e32 vcc, 0, v[8:9]
	v_mbcnt_lo_u32_b32 v2, -1, 0
	s_and_saveexec_b64 s[4:5], vcc
	s_xor_b64 s[10:11], exec, s[4:5]
	s_cbranch_execz .LBB2_86
; %bb.1:
	s_load_dwordx2 s[12:13], s[8:9], 0x50
	v_and_b32_e32 v6, 2, v3
	v_mov_b32_e32 v31, 0
	v_and_b32_e32 v0, -3, v3
	v_mbcnt_hi_u32_b32 v32, -1, v2
	s_movk_i32 s23, 0xff1f
	v_mov_b32_e32 v12, 2
	v_mov_b32_e32 v13, 1
	s_branch .LBB2_3
.LBB2_2:                                ;   in Loop: Header=BB2_3 Depth=1
	s_or_b64 exec, exec, s[16:17]
	v_sub_co_u32_e32 v4, vcc, v4, v34
	v_subb_co_u32_e32 v5, vcc, v5, v35, vcc
	v_cmp_eq_u64_e32 vcc, 0, v[4:5]
	s_or_b64 s[6:7], vcc, s[6:7]
	v_add_co_u32_e32 v8, vcc, v8, v34
	v_addc_co_u32_e32 v9, vcc, v9, v35, vcc
	s_andn2_b64 exec, exec, s[6:7]
	s_cbranch_execz .LBB2_85
.LBB2_3:                                ; =>This Loop Header: Depth=1
                                        ;     Child Loop BB2_6 Depth 2
                                        ;     Child Loop BB2_14 Depth 2
	;; [unrolled: 1-line block ×11, first 2 shown]
	v_cmp_gt_u64_e32 vcc, 56, v[4:5]
	v_cndmask_b32_e32 v35, 0, v5, vcc
	v_cndmask_b32_e32 v34, 56, v4, vcc
	v_cmp_gt_u64_e32 vcc, 8, v[4:5]
                                        ; implicit-def: $vgpr2_vgpr3
                                        ; implicit-def: $sgpr14
	s_and_saveexec_b64 s[4:5], vcc
	s_xor_b64 s[4:5], exec, s[4:5]
	s_cbranch_execz .LBB2_9
; %bb.4:                                ;   in Loop: Header=BB2_3 Depth=1
	s_mov_b64 s[16:17], 0
	v_cmp_ne_u64_e32 vcc, 0, v[4:5]
	s_waitcnt vmcnt(0)
	v_pk_mov_b32 v[2:3], 0, 0
	s_and_saveexec_b64 s[14:15], vcc
	s_cbranch_execz .LBB2_8
; %bb.5:                                ;   in Loop: Header=BB2_3 Depth=1
	v_lshlrev_b64 v[10:11], 3, v[34:35]
	v_pk_mov_b32 v[2:3], 0, 0
	v_pk_mov_b32 v[14:15], v[8:9], v[8:9] op_sel:[0,1]
	s_mov_b64 s[18:19], 0
.LBB2_6:                                ;   Parent Loop BB2_3 Depth=1
                                        ; =>  This Inner Loop Header: Depth=2
	flat_load_ubyte v7, v[14:15]
	v_mov_b32_e32 v17, s22
	v_add_co_u32_e32 v14, vcc, 1, v14
	v_addc_co_u32_e32 v15, vcc, 0, v15, vcc
	s_waitcnt vmcnt(0) lgkmcnt(0)
	v_and_b32_e32 v16, 0xffff, v7
	v_lshlrev_b64 v[16:17], s18, v[16:17]
	s_add_u32 s18, s18, 8
	s_addc_u32 s19, s19, 0
	v_cmp_eq_u32_e32 vcc, s18, v10
	v_or_b32_e32 v3, v17, v3
	s_or_b64 s[16:17], vcc, s[16:17]
	v_or_b32_e32 v2, v16, v2
	s_andn2_b64 exec, exec, s[16:17]
	s_cbranch_execnz .LBB2_6
; %bb.7:                                ;   in Loop: Header=BB2_3 Depth=1
	s_or_b64 exec, exec, s[16:17]
.LBB2_8:                                ;   in Loop: Header=BB2_3 Depth=1
	s_or_b64 exec, exec, s[14:15]
	s_mov_b32 s14, 0
.LBB2_9:                                ;   in Loop: Header=BB2_3 Depth=1
	s_or_saveexec_b64 s[4:5], s[4:5]
	v_mov_b32_e32 v7, s14
	v_pk_mov_b32 v[10:11], v[8:9], v[8:9] op_sel:[0,1]
	s_xor_b64 exec, exec, s[4:5]
	s_cbranch_execz .LBB2_11
; %bb.10:                               ;   in Loop: Header=BB2_3 Depth=1
	s_waitcnt vmcnt(0)
	flat_load_dwordx2 v[2:3], v[8:9]
	v_add_u32_e32 v7, -8, v34
	s_waitcnt vmcnt(0) lgkmcnt(0)
	v_and_b32_e32 v10, 0xff, v3
	v_and_b32_e32 v11, 0xff00, v3
	;; [unrolled: 1-line block ×4, first 2 shown]
	v_or_b32_e32 v10, v10, v11
	v_or3_b32 v3, v10, v14, v3
	v_add_co_u32_e32 v10, vcc, 8, v8
	v_or3_b32 v2, v2, 0, 0
	v_addc_co_u32_e32 v11, vcc, 0, v9, vcc
.LBB2_11:                               ;   in Loop: Header=BB2_3 Depth=1
	s_or_b64 exec, exec, s[4:5]
	v_cmp_gt_u32_e32 vcc, 8, v7
                                        ; implicit-def: $vgpr14_vgpr15
                                        ; implicit-def: $sgpr14
	s_and_saveexec_b64 s[4:5], vcc
	s_xor_b64 s[4:5], exec, s[4:5]
	s_cbranch_execz .LBB2_17
; %bb.12:                               ;   in Loop: Header=BB2_3 Depth=1
	v_cmp_ne_u32_e32 vcc, 0, v7
	v_pk_mov_b32 v[14:15], 0, 0
	s_and_saveexec_b64 s[14:15], vcc
	s_cbranch_execz .LBB2_16
; %bb.13:                               ;   in Loop: Header=BB2_3 Depth=1
	s_mov_b64 s[16:17], 0
	v_pk_mov_b32 v[14:15], 0, 0
	s_mov_b64 s[18:19], 0
	s_mov_b64 s[20:21], 0
.LBB2_14:                               ;   Parent Loop BB2_3 Depth=1
                                        ; =>  This Inner Loop Header: Depth=2
	v_mov_b32_e32 v17, s21
	v_add_co_u32_e32 v16, vcc, s20, v10
	v_addc_co_u32_e32 v17, vcc, v11, v17, vcc
	flat_load_ubyte v16, v[16:17]
	s_add_u32 s20, s20, 1
	v_mov_b32_e32 v17, s22
	s_addc_u32 s21, s21, 0
	v_cmp_eq_u32_e32 vcc, s20, v7
	s_waitcnt vmcnt(0) lgkmcnt(0)
	v_and_b32_e32 v16, 0xffff, v16
	v_lshlrev_b64 v[16:17], s18, v[16:17]
	s_add_u32 s18, s18, 8
	s_addc_u32 s19, s19, 0
	v_or_b32_e32 v15, v17, v15
	s_or_b64 s[16:17], vcc, s[16:17]
	v_or_b32_e32 v14, v16, v14
	s_andn2_b64 exec, exec, s[16:17]
	s_cbranch_execnz .LBB2_14
; %bb.15:                               ;   in Loop: Header=BB2_3 Depth=1
	s_or_b64 exec, exec, s[16:17]
.LBB2_16:                               ;   in Loop: Header=BB2_3 Depth=1
	s_or_b64 exec, exec, s[14:15]
	s_mov_b32 s14, 0
                                        ; implicit-def: $vgpr7
.LBB2_17:                               ;   in Loop: Header=BB2_3 Depth=1
	s_or_saveexec_b64 s[4:5], s[4:5]
	v_mov_b32_e32 v18, s14
	s_xor_b64 exec, exec, s[4:5]
	s_cbranch_execz .LBB2_19
; %bb.18:                               ;   in Loop: Header=BB2_3 Depth=1
	flat_load_dwordx2 v[14:15], v[10:11]
	v_add_u32_e32 v18, -8, v7
	v_add_co_u32_e32 v10, vcc, 8, v10
	v_addc_co_u32_e32 v11, vcc, 0, v11, vcc
	s_waitcnt vmcnt(0) lgkmcnt(0)
	v_and_b32_e32 v7, 0xff, v15
	v_and_b32_e32 v16, 0xff00, v15
	;; [unrolled: 1-line block ×4, first 2 shown]
	v_or_b32_e32 v7, v7, v16
	v_or3_b32 v14, v14, 0, 0
	v_or3_b32 v15, v7, v17, v15
.LBB2_19:                               ;   in Loop: Header=BB2_3 Depth=1
	s_or_b64 exec, exec, s[4:5]
	v_cmp_gt_u32_e32 vcc, 8, v18
                                        ; implicit-def: $sgpr14
	s_and_saveexec_b64 s[4:5], vcc
	s_xor_b64 s[4:5], exec, s[4:5]
	s_cbranch_execz .LBB2_25
; %bb.20:                               ;   in Loop: Header=BB2_3 Depth=1
	v_cmp_ne_u32_e32 vcc, 0, v18
	v_pk_mov_b32 v[16:17], 0, 0
	s_and_saveexec_b64 s[14:15], vcc
	s_cbranch_execz .LBB2_24
; %bb.21:                               ;   in Loop: Header=BB2_3 Depth=1
	s_mov_b64 s[16:17], 0
	v_pk_mov_b32 v[16:17], 0, 0
	s_mov_b64 s[18:19], 0
	s_mov_b64 s[20:21], 0
.LBB2_22:                               ;   Parent Loop BB2_3 Depth=1
                                        ; =>  This Inner Loop Header: Depth=2
	v_mov_b32_e32 v7, s21
	v_add_co_u32_e32 v20, vcc, s20, v10
	v_addc_co_u32_e32 v21, vcc, v11, v7, vcc
	flat_load_ubyte v7, v[20:21]
	s_add_u32 s20, s20, 1
	v_mov_b32_e32 v21, s22
	s_addc_u32 s21, s21, 0
	v_cmp_eq_u32_e32 vcc, s20, v18
	s_waitcnt vmcnt(0) lgkmcnt(0)
	v_and_b32_e32 v20, 0xffff, v7
	v_lshlrev_b64 v[20:21], s18, v[20:21]
	s_add_u32 s18, s18, 8
	s_addc_u32 s19, s19, 0
	v_or_b32_e32 v17, v21, v17
	s_or_b64 s[16:17], vcc, s[16:17]
	v_or_b32_e32 v16, v20, v16
	s_andn2_b64 exec, exec, s[16:17]
	s_cbranch_execnz .LBB2_22
; %bb.23:                               ;   in Loop: Header=BB2_3 Depth=1
	s_or_b64 exec, exec, s[16:17]
.LBB2_24:                               ;   in Loop: Header=BB2_3 Depth=1
	s_or_b64 exec, exec, s[14:15]
	s_mov_b32 s14, 0
                                        ; implicit-def: $vgpr18
.LBB2_25:                               ;   in Loop: Header=BB2_3 Depth=1
	s_or_saveexec_b64 s[4:5], s[4:5]
	v_mov_b32_e32 v7, s14
	s_xor_b64 exec, exec, s[4:5]
	s_cbranch_execz .LBB2_27
; %bb.26:                               ;   in Loop: Header=BB2_3 Depth=1
	flat_load_dwordx2 v[16:17], v[10:11]
	v_add_u32_e32 v7, -8, v18
	v_add_co_u32_e32 v10, vcc, 8, v10
	v_addc_co_u32_e32 v11, vcc, 0, v11, vcc
	s_waitcnt vmcnt(0) lgkmcnt(0)
	v_and_b32_e32 v18, 0xff, v17
	v_and_b32_e32 v19, 0xff00, v17
	;; [unrolled: 1-line block ×4, first 2 shown]
	v_or_b32_e32 v18, v18, v19
	v_or3_b32 v16, v16, 0, 0
	v_or3_b32 v17, v18, v20, v17
.LBB2_27:                               ;   in Loop: Header=BB2_3 Depth=1
	s_or_b64 exec, exec, s[4:5]
	v_cmp_gt_u32_e32 vcc, 8, v7
                                        ; implicit-def: $vgpr18_vgpr19
                                        ; implicit-def: $sgpr14
	s_and_saveexec_b64 s[4:5], vcc
	s_xor_b64 s[4:5], exec, s[4:5]
	s_cbranch_execz .LBB2_33
; %bb.28:                               ;   in Loop: Header=BB2_3 Depth=1
	v_cmp_ne_u32_e32 vcc, 0, v7
	v_pk_mov_b32 v[18:19], 0, 0
	s_and_saveexec_b64 s[14:15], vcc
	s_cbranch_execz .LBB2_32
; %bb.29:                               ;   in Loop: Header=BB2_3 Depth=1
	s_mov_b64 s[16:17], 0
	v_pk_mov_b32 v[18:19], 0, 0
	s_mov_b64 s[18:19], 0
	s_mov_b64 s[20:21], 0
.LBB2_30:                               ;   Parent Loop BB2_3 Depth=1
                                        ; =>  This Inner Loop Header: Depth=2
	v_mov_b32_e32 v21, s21
	v_add_co_u32_e32 v20, vcc, s20, v10
	v_addc_co_u32_e32 v21, vcc, v11, v21, vcc
	flat_load_ubyte v20, v[20:21]
	s_add_u32 s20, s20, 1
	v_mov_b32_e32 v21, s22
	s_addc_u32 s21, s21, 0
	v_cmp_eq_u32_e32 vcc, s20, v7
	s_waitcnt vmcnt(0) lgkmcnt(0)
	v_and_b32_e32 v20, 0xffff, v20
	v_lshlrev_b64 v[20:21], s18, v[20:21]
	s_add_u32 s18, s18, 8
	s_addc_u32 s19, s19, 0
	v_or_b32_e32 v19, v21, v19
	s_or_b64 s[16:17], vcc, s[16:17]
	v_or_b32_e32 v18, v20, v18
	s_andn2_b64 exec, exec, s[16:17]
	s_cbranch_execnz .LBB2_30
; %bb.31:                               ;   in Loop: Header=BB2_3 Depth=1
	s_or_b64 exec, exec, s[16:17]
.LBB2_32:                               ;   in Loop: Header=BB2_3 Depth=1
	s_or_b64 exec, exec, s[14:15]
	s_mov_b32 s14, 0
                                        ; implicit-def: $vgpr7
.LBB2_33:                               ;   in Loop: Header=BB2_3 Depth=1
	s_or_saveexec_b64 s[4:5], s[4:5]
	v_mov_b32_e32 v22, s14
	s_xor_b64 exec, exec, s[4:5]
	s_cbranch_execz .LBB2_35
; %bb.34:                               ;   in Loop: Header=BB2_3 Depth=1
	flat_load_dwordx2 v[18:19], v[10:11]
	v_add_u32_e32 v22, -8, v7
	v_add_co_u32_e32 v10, vcc, 8, v10
	v_addc_co_u32_e32 v11, vcc, 0, v11, vcc
	s_waitcnt vmcnt(0) lgkmcnt(0)
	v_and_b32_e32 v7, 0xff, v19
	v_and_b32_e32 v20, 0xff00, v19
	;; [unrolled: 1-line block ×4, first 2 shown]
	v_or_b32_e32 v7, v7, v20
	v_or3_b32 v18, v18, 0, 0
	v_or3_b32 v19, v7, v21, v19
.LBB2_35:                               ;   in Loop: Header=BB2_3 Depth=1
	s_or_b64 exec, exec, s[4:5]
	v_cmp_gt_u32_e32 vcc, 8, v22
                                        ; implicit-def: $sgpr14
	s_and_saveexec_b64 s[4:5], vcc
	s_xor_b64 s[4:5], exec, s[4:5]
	s_cbranch_execz .LBB2_41
; %bb.36:                               ;   in Loop: Header=BB2_3 Depth=1
	v_cmp_ne_u32_e32 vcc, 0, v22
	v_pk_mov_b32 v[20:21], 0, 0
	s_and_saveexec_b64 s[14:15], vcc
	s_cbranch_execz .LBB2_40
; %bb.37:                               ;   in Loop: Header=BB2_3 Depth=1
	s_mov_b64 s[16:17], 0
	v_pk_mov_b32 v[20:21], 0, 0
	s_mov_b64 s[18:19], 0
	s_mov_b64 s[20:21], 0
.LBB2_38:                               ;   Parent Loop BB2_3 Depth=1
                                        ; =>  This Inner Loop Header: Depth=2
	v_mov_b32_e32 v7, s21
	v_add_co_u32_e32 v24, vcc, s20, v10
	v_addc_co_u32_e32 v25, vcc, v11, v7, vcc
	flat_load_ubyte v7, v[24:25]
	s_add_u32 s20, s20, 1
	v_mov_b32_e32 v25, s22
	s_addc_u32 s21, s21, 0
	v_cmp_eq_u32_e32 vcc, s20, v22
	s_waitcnt vmcnt(0) lgkmcnt(0)
	v_and_b32_e32 v24, 0xffff, v7
	v_lshlrev_b64 v[24:25], s18, v[24:25]
	s_add_u32 s18, s18, 8
	s_addc_u32 s19, s19, 0
	v_or_b32_e32 v21, v25, v21
	s_or_b64 s[16:17], vcc, s[16:17]
	v_or_b32_e32 v20, v24, v20
	s_andn2_b64 exec, exec, s[16:17]
	s_cbranch_execnz .LBB2_38
; %bb.39:                               ;   in Loop: Header=BB2_3 Depth=1
	s_or_b64 exec, exec, s[16:17]
.LBB2_40:                               ;   in Loop: Header=BB2_3 Depth=1
	s_or_b64 exec, exec, s[14:15]
	s_mov_b32 s14, 0
                                        ; implicit-def: $vgpr22
.LBB2_41:                               ;   in Loop: Header=BB2_3 Depth=1
	s_or_saveexec_b64 s[4:5], s[4:5]
	v_mov_b32_e32 v7, s14
	s_xor_b64 exec, exec, s[4:5]
	s_cbranch_execz .LBB2_43
; %bb.42:                               ;   in Loop: Header=BB2_3 Depth=1
	flat_load_dwordx2 v[20:21], v[10:11]
	v_add_u32_e32 v7, -8, v22
	v_add_co_u32_e32 v10, vcc, 8, v10
	v_addc_co_u32_e32 v11, vcc, 0, v11, vcc
	s_waitcnt vmcnt(0) lgkmcnt(0)
	v_and_b32_e32 v22, 0xff, v21
	v_and_b32_e32 v23, 0xff00, v21
	v_and_b32_e32 v24, 0xff0000, v21
	v_and_b32_e32 v21, 0xff000000, v21
	v_or_b32_e32 v22, v22, v23
	v_or3_b32 v20, v20, 0, 0
	v_or3_b32 v21, v22, v24, v21
.LBB2_43:                               ;   in Loop: Header=BB2_3 Depth=1
	s_or_b64 exec, exec, s[4:5]
	v_cmp_gt_u32_e32 vcc, 8, v7
                                        ; implicit-def: $vgpr22_vgpr23
                                        ; implicit-def: $sgpr14
	s_and_saveexec_b64 s[4:5], vcc
	s_xor_b64 s[4:5], exec, s[4:5]
	s_cbranch_execz .LBB2_49
; %bb.44:                               ;   in Loop: Header=BB2_3 Depth=1
	v_cmp_ne_u32_e32 vcc, 0, v7
	v_pk_mov_b32 v[22:23], 0, 0
	s_and_saveexec_b64 s[14:15], vcc
	s_cbranch_execz .LBB2_48
; %bb.45:                               ;   in Loop: Header=BB2_3 Depth=1
	s_mov_b64 s[16:17], 0
	v_pk_mov_b32 v[22:23], 0, 0
	s_mov_b64 s[18:19], 0
	s_mov_b64 s[20:21], 0
.LBB2_46:                               ;   Parent Loop BB2_3 Depth=1
                                        ; =>  This Inner Loop Header: Depth=2
	v_mov_b32_e32 v25, s21
	v_add_co_u32_e32 v24, vcc, s20, v10
	v_addc_co_u32_e32 v25, vcc, v11, v25, vcc
	flat_load_ubyte v24, v[24:25]
	s_add_u32 s20, s20, 1
	v_mov_b32_e32 v25, s22
	s_addc_u32 s21, s21, 0
	v_cmp_eq_u32_e32 vcc, s20, v7
	s_waitcnt vmcnt(0) lgkmcnt(0)
	v_and_b32_e32 v24, 0xffff, v24
	v_lshlrev_b64 v[24:25], s18, v[24:25]
	s_add_u32 s18, s18, 8
	s_addc_u32 s19, s19, 0
	v_or_b32_e32 v23, v25, v23
	s_or_b64 s[16:17], vcc, s[16:17]
	v_or_b32_e32 v22, v24, v22
	s_andn2_b64 exec, exec, s[16:17]
	s_cbranch_execnz .LBB2_46
; %bb.47:                               ;   in Loop: Header=BB2_3 Depth=1
	s_or_b64 exec, exec, s[16:17]
.LBB2_48:                               ;   in Loop: Header=BB2_3 Depth=1
	s_or_b64 exec, exec, s[14:15]
	s_mov_b32 s14, 0
                                        ; implicit-def: $vgpr7
.LBB2_49:                               ;   in Loop: Header=BB2_3 Depth=1
	s_or_saveexec_b64 s[4:5], s[4:5]
	v_mov_b32_e32 v26, s14
	s_xor_b64 exec, exec, s[4:5]
	s_cbranch_execz .LBB2_51
; %bb.50:                               ;   in Loop: Header=BB2_3 Depth=1
	flat_load_dwordx2 v[22:23], v[10:11]
	v_add_u32_e32 v26, -8, v7
	v_add_co_u32_e32 v10, vcc, 8, v10
	v_addc_co_u32_e32 v11, vcc, 0, v11, vcc
	s_waitcnt vmcnt(0) lgkmcnt(0)
	v_and_b32_e32 v7, 0xff, v23
	v_and_b32_e32 v24, 0xff00, v23
	v_and_b32_e32 v25, 0xff0000, v23
	v_and_b32_e32 v23, 0xff000000, v23
	v_or_b32_e32 v7, v7, v24
	v_or3_b32 v22, v22, 0, 0
	v_or3_b32 v23, v7, v25, v23
.LBB2_51:                               ;   in Loop: Header=BB2_3 Depth=1
	s_or_b64 exec, exec, s[4:5]
	v_cmp_gt_u32_e32 vcc, 8, v26
	s_and_saveexec_b64 s[4:5], vcc
	s_xor_b64 s[4:5], exec, s[4:5]
	s_cbranch_execz .LBB2_57
; %bb.52:                               ;   in Loop: Header=BB2_3 Depth=1
	v_cmp_ne_u32_e32 vcc, 0, v26
	v_pk_mov_b32 v[24:25], 0, 0
	s_and_saveexec_b64 s[14:15], vcc
	s_cbranch_execz .LBB2_56
; %bb.53:                               ;   in Loop: Header=BB2_3 Depth=1
	s_mov_b64 s[16:17], 0
	v_pk_mov_b32 v[24:25], 0, 0
	s_mov_b64 s[18:19], 0
.LBB2_54:                               ;   Parent Loop BB2_3 Depth=1
                                        ; =>  This Inner Loop Header: Depth=2
	flat_load_ubyte v7, v[10:11]
	v_mov_b32_e32 v29, s22
	v_add_co_u32_e32 v10, vcc, 1, v10
	v_add_u32_e32 v26, -1, v26
	v_addc_co_u32_e32 v11, vcc, 0, v11, vcc
	v_cmp_eq_u32_e32 vcc, 0, v26
	s_waitcnt vmcnt(0) lgkmcnt(0)
	v_and_b32_e32 v28, 0xffff, v7
	v_lshlrev_b64 v[28:29], s18, v[28:29]
	s_add_u32 s18, s18, 8
	s_addc_u32 s19, s19, 0
	v_or_b32_e32 v25, v29, v25
	s_or_b64 s[16:17], vcc, s[16:17]
	v_or_b32_e32 v24, v28, v24
	s_andn2_b64 exec, exec, s[16:17]
	s_cbranch_execnz .LBB2_54
; %bb.55:                               ;   in Loop: Header=BB2_3 Depth=1
	s_or_b64 exec, exec, s[16:17]
.LBB2_56:                               ;   in Loop: Header=BB2_3 Depth=1
	s_or_b64 exec, exec, s[14:15]
                                        ; implicit-def: $vgpr10_vgpr11
.LBB2_57:                               ;   in Loop: Header=BB2_3 Depth=1
	s_andn2_saveexec_b64 s[4:5], s[4:5]
	s_cbranch_execz .LBB2_59
; %bb.58:                               ;   in Loop: Header=BB2_3 Depth=1
	flat_load_dwordx2 v[10:11], v[10:11]
	s_waitcnt vmcnt(0) lgkmcnt(0)
	v_and_b32_e32 v7, 0xff, v11
	v_and_b32_e32 v24, 0xff00, v11
	;; [unrolled: 1-line block ×4, first 2 shown]
	v_or_b32_e32 v7, v7, v24
	v_or3_b32 v25, v7, v25, v11
	v_or3_b32 v24, v10, 0, 0
.LBB2_59:                               ;   in Loop: Header=BB2_3 Depth=1
	s_or_b64 exec, exec, s[4:5]
	v_readfirstlane_b32 s4, v32
	v_cmp_eq_u32_e64 s[4:5], s4, v32
	v_pk_mov_b32 v[10:11], 0, 0
	s_and_saveexec_b64 s[14:15], s[4:5]
	s_cbranch_execz .LBB2_65
; %bb.60:                               ;   in Loop: Header=BB2_3 Depth=1
	s_waitcnt lgkmcnt(0)
	global_load_dwordx2 v[28:29], v31, s[12:13] offset:24 glc
	s_waitcnt vmcnt(0)
	buffer_invl2
	buffer_wbinvl1_vol
	global_load_dwordx2 v[10:11], v31, s[12:13] offset:40
	global_load_dwordx2 v[26:27], v31, s[12:13]
	s_waitcnt vmcnt(1)
	v_and_b32_e32 v7, v10, v28
	v_and_b32_e32 v10, v11, v29
	v_mul_lo_u32 v10, v10, 24
	v_mul_hi_u32 v11, v7, 24
	v_mul_lo_u32 v7, v7, 24
	v_add_u32_e32 v11, v11, v10
	s_waitcnt vmcnt(0)
	v_add_co_u32_e32 v10, vcc, v26, v7
	v_addc_co_u32_e32 v11, vcc, v27, v11, vcc
	global_load_dwordx2 v[26:27], v[10:11], off glc
	s_waitcnt vmcnt(0)
	global_atomic_cmpswap_x2 v[10:11], v31, v[26:29], s[12:13] offset:24 glc
	s_waitcnt vmcnt(0)
	buffer_invl2
	buffer_wbinvl1_vol
	v_cmp_ne_u64_e32 vcc, v[10:11], v[28:29]
	s_and_saveexec_b64 s[16:17], vcc
	s_cbranch_execz .LBB2_64
; %bb.61:                               ;   in Loop: Header=BB2_3 Depth=1
	s_mov_b64 s[18:19], 0
.LBB2_62:                               ;   Parent Loop BB2_3 Depth=1
                                        ; =>  This Inner Loop Header: Depth=2
	s_sleep 1
	global_load_dwordx2 v[26:27], v31, s[12:13] offset:40
	global_load_dwordx2 v[36:37], v31, s[12:13]
	v_pk_mov_b32 v[28:29], v[10:11], v[10:11] op_sel:[0,1]
	s_waitcnt vmcnt(1)
	v_and_b32_e32 v10, v26, v28
	s_waitcnt vmcnt(0)
	v_mad_u64_u32 v[10:11], s[20:21], v10, 24, v[36:37]
	v_and_b32_e32 v7, v27, v29
	v_mov_b32_e32 v26, v11
	v_mad_u64_u32 v[26:27], s[20:21], v7, 24, v[26:27]
	v_mov_b32_e32 v11, v26
	global_load_dwordx2 v[26:27], v[10:11], off glc
	s_waitcnt vmcnt(0)
	global_atomic_cmpswap_x2 v[10:11], v31, v[26:29], s[12:13] offset:24 glc
	s_waitcnt vmcnt(0)
	buffer_invl2
	buffer_wbinvl1_vol
	v_cmp_eq_u64_e32 vcc, v[10:11], v[28:29]
	s_or_b64 s[18:19], vcc, s[18:19]
	s_andn2_b64 exec, exec, s[18:19]
	s_cbranch_execnz .LBB2_62
; %bb.63:                               ;   in Loop: Header=BB2_3 Depth=1
	s_or_b64 exec, exec, s[18:19]
.LBB2_64:                               ;   in Loop: Header=BB2_3 Depth=1
	s_or_b64 exec, exec, s[16:17]
.LBB2_65:                               ;   in Loop: Header=BB2_3 Depth=1
	s_or_b64 exec, exec, s[14:15]
	s_waitcnt lgkmcnt(0)
	global_load_dwordx2 v[36:37], v31, s[12:13] offset:40
	global_load_dwordx4 v[26:29], v31, s[12:13]
	v_readfirstlane_b32 s14, v10
	v_readfirstlane_b32 s15, v11
	s_mov_b64 s[16:17], exec
	s_waitcnt vmcnt(1)
	v_readfirstlane_b32 s18, v36
	v_readfirstlane_b32 s19, v37
	s_and_b64 s[18:19], s[14:15], s[18:19]
	s_mul_i32 s20, s19, 24
	s_mul_hi_u32 s21, s18, 24
	s_mul_i32 s24, s18, 24
	s_add_i32 s20, s21, s20
	v_mov_b32_e32 v7, s20
	s_waitcnt vmcnt(0)
	v_add_co_u32_e32 v36, vcc, s24, v26
	v_addc_co_u32_e32 v37, vcc, v27, v7, vcc
	s_and_saveexec_b64 s[20:21], s[4:5]
	s_cbranch_execz .LBB2_67
; %bb.66:                               ;   in Loop: Header=BB2_3 Depth=1
	v_pk_mov_b32 v[10:11], s[16:17], s[16:17] op_sel:[0,1]
	global_store_dwordx4 v[36:37], v[10:13], off offset:8
.LBB2_67:                               ;   in Loop: Header=BB2_3 Depth=1
	s_or_b64 exec, exec, s[20:21]
	s_lshl_b64 s[16:17], s[18:19], 12
	v_mov_b32_e32 v7, s17
	v_add_co_u32_e32 v10, vcc, s16, v28
	v_addc_co_u32_e32 v7, vcc, v29, v7, vcc
	v_or_b32_e32 v11, 0, v1
	v_cmp_lt_u64_e32 vcc, 56, v[4:5]
	v_or_b32_e32 v28, v0, v6
	v_cndmask_b32_e32 v1, v11, v1, vcc
	v_lshl_add_u32 v11, v34, 2, 28
	v_cndmask_b32_e32 v0, v28, v0, vcc
	v_and_b32_e32 v11, 0x1e0, v11
	v_and_or_b32 v0, v0, s23, v11
	v_lshlrev_b32_e32 v11, 6, v32
	v_readfirstlane_b32 s16, v10
	v_readfirstlane_b32 s17, v7
	s_nop 4
	global_store_dwordx4 v11, v[0:3], s[16:17]
	global_store_dwordx4 v11, v[14:17], s[16:17] offset:16
	global_store_dwordx4 v11, v[18:21], s[16:17] offset:32
	;; [unrolled: 1-line block ×3, first 2 shown]
	s_and_saveexec_b64 s[16:17], s[4:5]
	s_cbranch_execz .LBB2_75
; %bb.68:                               ;   in Loop: Header=BB2_3 Depth=1
	global_load_dwordx2 v[18:19], v31, s[12:13] offset:32 glc
	global_load_dwordx2 v[0:1], v31, s[12:13] offset:40
	v_mov_b32_e32 v16, s14
	v_mov_b32_e32 v17, s15
	s_waitcnt vmcnt(0)
	v_readfirstlane_b32 s18, v0
	v_readfirstlane_b32 s19, v1
	s_and_b64 s[18:19], s[18:19], s[14:15]
	s_mul_i32 s19, s19, 24
	s_mul_hi_u32 s20, s18, 24
	s_mul_i32 s18, s18, 24
	s_add_i32 s19, s20, s19
	v_mov_b32_e32 v0, s19
	v_add_co_u32_e32 v14, vcc, s18, v26
	v_addc_co_u32_e32 v15, vcc, v27, v0, vcc
	global_store_dwordx2 v[14:15], v[18:19], off
	buffer_wbl2
	s_waitcnt vmcnt(0)
	global_atomic_cmpswap_x2 v[2:3], v31, v[16:19], s[12:13] offset:32 glc
	s_waitcnt vmcnt(0)
	v_cmp_ne_u64_e32 vcc, v[2:3], v[18:19]
	s_and_saveexec_b64 s[18:19], vcc
	s_cbranch_execz .LBB2_71
; %bb.69:                               ;   in Loop: Header=BB2_3 Depth=1
	s_mov_b64 s[20:21], 0
.LBB2_70:                               ;   Parent Loop BB2_3 Depth=1
                                        ; =>  This Inner Loop Header: Depth=2
	s_sleep 1
	global_store_dwordx2 v[14:15], v[2:3], off
	v_mov_b32_e32 v0, s14
	v_mov_b32_e32 v1, s15
	buffer_wbl2
	s_waitcnt vmcnt(0)
	global_atomic_cmpswap_x2 v[0:1], v31, v[0:3], s[12:13] offset:32 glc
	s_waitcnt vmcnt(0)
	v_cmp_eq_u64_e32 vcc, v[0:1], v[2:3]
	s_or_b64 s[20:21], vcc, s[20:21]
	v_pk_mov_b32 v[2:3], v[0:1], v[0:1] op_sel:[0,1]
	s_andn2_b64 exec, exec, s[20:21]
	s_cbranch_execnz .LBB2_70
.LBB2_71:                               ;   in Loop: Header=BB2_3 Depth=1
	s_or_b64 exec, exec, s[18:19]
	global_load_dwordx2 v[0:1], v31, s[12:13] offset:16
	s_mov_b64 s[20:21], exec
	v_mbcnt_lo_u32_b32 v2, s20, 0
	v_mbcnt_hi_u32_b32 v2, s21, v2
	v_cmp_eq_u32_e32 vcc, 0, v2
	s_and_saveexec_b64 s[18:19], vcc
	s_cbranch_execz .LBB2_73
; %bb.72:                               ;   in Loop: Header=BB2_3 Depth=1
	s_bcnt1_i32_b64 s20, s[20:21]
	v_mov_b32_e32 v30, s20
	buffer_wbl2
	s_waitcnt vmcnt(0)
	global_atomic_add_x2 v[0:1], v[30:31], off offset:8
.LBB2_73:                               ;   in Loop: Header=BB2_3 Depth=1
	s_or_b64 exec, exec, s[18:19]
	s_waitcnt vmcnt(0)
	global_load_dwordx2 v[2:3], v[0:1], off offset:16
	s_waitcnt vmcnt(0)
	v_cmp_eq_u64_e32 vcc, 0, v[2:3]
	s_cbranch_vccnz .LBB2_75
; %bb.74:                               ;   in Loop: Header=BB2_3 Depth=1
	global_load_dword v30, v[0:1], off offset:24
	s_waitcnt vmcnt(0)
	v_and_b32_e32 v0, 0xffffff, v30
	v_readfirstlane_b32 m0, v0
	buffer_wbl2
	global_store_dwordx2 v[2:3], v[30:31], off
	s_sendmsg sendmsg(MSG_INTERRUPT)
.LBB2_75:                               ;   in Loop: Header=BB2_3 Depth=1
	s_or_b64 exec, exec, s[16:17]
	v_add_co_u32_e32 v0, vcc, v10, v11
	v_addc_co_u32_e32 v1, vcc, 0, v7, vcc
	s_branch .LBB2_79
.LBB2_76:                               ;   in Loop: Header=BB2_79 Depth=2
	s_or_b64 exec, exec, s[16:17]
	v_readfirstlane_b32 s16, v2
	s_cmp_eq_u32 s16, 0
	s_cbranch_scc1 .LBB2_78
; %bb.77:                               ;   in Loop: Header=BB2_79 Depth=2
	s_sleep 1
	s_cbranch_execnz .LBB2_79
	s_branch .LBB2_81
.LBB2_78:                               ;   in Loop: Header=BB2_3 Depth=1
	s_branch .LBB2_81
.LBB2_79:                               ;   Parent Loop BB2_3 Depth=1
                                        ; =>  This Inner Loop Header: Depth=2
	v_mov_b32_e32 v2, 1
	s_and_saveexec_b64 s[16:17], s[4:5]
	s_cbranch_execz .LBB2_76
; %bb.80:                               ;   in Loop: Header=BB2_79 Depth=2
	global_load_dword v2, v[36:37], off offset:20 glc
	s_waitcnt vmcnt(0)
	buffer_invl2
	buffer_wbinvl1_vol
	v_and_b32_e32 v2, 1, v2
	s_branch .LBB2_76
.LBB2_81:                               ;   in Loop: Header=BB2_3 Depth=1
	global_load_dwordx4 v[0:3], v[0:1], off
	s_and_saveexec_b64 s[16:17], s[4:5]
	s_cbranch_execz .LBB2_2
; %bb.82:                               ;   in Loop: Header=BB2_3 Depth=1
	global_load_dwordx2 v[2:3], v31, s[12:13] offset:40
	global_load_dwordx2 v[10:11], v31, s[12:13] offset:24 glc
	global_load_dwordx2 v[18:19], v31, s[12:13]
	v_mov_b32_e32 v7, s15
	s_waitcnt vmcnt(2)
	v_add_co_u32_e32 v17, vcc, 1, v2
	v_addc_co_u32_e32 v20, vcc, 0, v3, vcc
	v_add_co_u32_e32 v14, vcc, s14, v17
	v_addc_co_u32_e32 v15, vcc, v20, v7, vcc
	v_cmp_eq_u64_e32 vcc, 0, v[14:15]
	v_cndmask_b32_e32 v15, v15, v20, vcc
	v_cndmask_b32_e32 v14, v14, v17, vcc
	v_and_b32_e32 v3, v15, v3
	v_and_b32_e32 v2, v14, v2
	v_mul_lo_u32 v3, v3, 24
	v_mul_hi_u32 v7, v2, 24
	v_mul_lo_u32 v2, v2, 24
	v_add_u32_e32 v3, v7, v3
	s_waitcnt vmcnt(0)
	v_add_co_u32_e32 v2, vcc, v18, v2
	v_addc_co_u32_e32 v3, vcc, v19, v3, vcc
	v_mov_b32_e32 v16, v10
	global_store_dwordx2 v[2:3], v[10:11], off
	v_mov_b32_e32 v17, v11
	buffer_wbl2
	s_waitcnt vmcnt(0)
	global_atomic_cmpswap_x2 v[16:17], v31, v[14:17], s[12:13] offset:24 glc
	s_waitcnt vmcnt(0)
	v_cmp_ne_u64_e32 vcc, v[16:17], v[10:11]
	s_and_b64 exec, exec, vcc
	s_cbranch_execz .LBB2_2
; %bb.83:                               ;   in Loop: Header=BB2_3 Depth=1
	s_mov_b64 s[4:5], 0
.LBB2_84:                               ;   Parent Loop BB2_3 Depth=1
                                        ; =>  This Inner Loop Header: Depth=2
	s_sleep 1
	global_store_dwordx2 v[2:3], v[16:17], off
	buffer_wbl2
	s_waitcnt vmcnt(0)
	global_atomic_cmpswap_x2 v[10:11], v31, v[14:17], s[12:13] offset:24 glc
	s_waitcnt vmcnt(0)
	v_cmp_eq_u64_e32 vcc, v[10:11], v[16:17]
	s_or_b64 s[4:5], vcc, s[4:5]
	v_pk_mov_b32 v[16:17], v[10:11], v[10:11] op_sel:[0,1]
	s_andn2_b64 exec, exec, s[4:5]
	s_cbranch_execnz .LBB2_84
	s_branch .LBB2_2
.LBB2_85:
	s_or_b64 exec, exec, s[6:7]
                                        ; implicit-def: $vgpr3
                                        ; implicit-def: $vgpr2
.LBB2_86:
	s_andn2_saveexec_b64 s[6:7], s[10:11]
	s_cbranch_execz .LBB2_109
; %bb.87:
	s_load_dwordx2 s[8:9], s[8:9], 0x50
	s_waitcnt vmcnt(0)
	v_mbcnt_hi_u32_b32 v10, -1, v2
	v_readfirstlane_b32 s4, v10
	v_cmp_eq_u32_e64 s[4:5], s4, v10
	v_pk_mov_b32 v[8:9], 0, 0
	s_and_saveexec_b64 s[10:11], s[4:5]
	s_cbranch_execz .LBB2_93
; %bb.88:
	v_mov_b32_e32 v0, 0
	s_waitcnt lgkmcnt(0)
	global_load_dwordx2 v[6:7], v0, s[8:9] offset:24 glc
	s_waitcnt vmcnt(0)
	buffer_invl2
	buffer_wbinvl1_vol
	global_load_dwordx2 v[4:5], v0, s[8:9] offset:40
	global_load_dwordx2 v[8:9], v0, s[8:9]
	s_waitcnt vmcnt(1)
	v_and_b32_e32 v2, v4, v6
	v_and_b32_e32 v4, v5, v7
	v_mul_lo_u32 v4, v4, 24
	v_mul_hi_u32 v5, v2, 24
	v_mul_lo_u32 v2, v2, 24
	v_add_u32_e32 v5, v5, v4
	s_waitcnt vmcnt(0)
	v_add_co_u32_e32 v4, vcc, v8, v2
	v_addc_co_u32_e32 v5, vcc, v9, v5, vcc
	global_load_dwordx2 v[4:5], v[4:5], off glc
	s_waitcnt vmcnt(0)
	global_atomic_cmpswap_x2 v[8:9], v0, v[4:7], s[8:9] offset:24 glc
	s_waitcnt vmcnt(0)
	buffer_invl2
	buffer_wbinvl1_vol
	v_cmp_ne_u64_e32 vcc, v[8:9], v[6:7]
	s_and_saveexec_b64 s[12:13], vcc
	s_cbranch_execz .LBB2_92
; %bb.89:
	s_mov_b64 s[14:15], 0
.LBB2_90:                               ; =>This Inner Loop Header: Depth=1
	s_sleep 1
	global_load_dwordx2 v[4:5], v0, s[8:9] offset:40
	global_load_dwordx2 v[12:13], v0, s[8:9]
	v_pk_mov_b32 v[6:7], v[8:9], v[8:9] op_sel:[0,1]
	s_waitcnt vmcnt(1)
	v_and_b32_e32 v2, v4, v6
	v_and_b32_e32 v8, v5, v7
	s_waitcnt vmcnt(0)
	v_mad_u64_u32 v[4:5], s[16:17], v2, 24, v[12:13]
	v_mov_b32_e32 v2, v5
	v_mad_u64_u32 v[8:9], s[16:17], v8, 24, v[2:3]
	v_mov_b32_e32 v5, v8
	global_load_dwordx2 v[4:5], v[4:5], off glc
	s_waitcnt vmcnt(0)
	global_atomic_cmpswap_x2 v[8:9], v0, v[4:7], s[8:9] offset:24 glc
	s_waitcnt vmcnt(0)
	buffer_invl2
	buffer_wbinvl1_vol
	v_cmp_eq_u64_e32 vcc, v[8:9], v[6:7]
	s_or_b64 s[14:15], vcc, s[14:15]
	s_andn2_b64 exec, exec, s[14:15]
	s_cbranch_execnz .LBB2_90
; %bb.91:
	s_or_b64 exec, exec, s[14:15]
.LBB2_92:
	s_or_b64 exec, exec, s[12:13]
.LBB2_93:
	s_or_b64 exec, exec, s[10:11]
	v_mov_b32_e32 v2, 0
	s_waitcnt lgkmcnt(0)
	global_load_dwordx2 v[12:13], v2, s[8:9] offset:40
	global_load_dwordx4 v[4:7], v2, s[8:9]
	v_readfirstlane_b32 s10, v8
	v_readfirstlane_b32 s11, v9
	s_mov_b64 s[12:13], exec
	s_waitcnt vmcnt(1)
	v_readfirstlane_b32 s14, v12
	v_readfirstlane_b32 s15, v13
	s_and_b64 s[14:15], s[10:11], s[14:15]
	s_mul_i32 s16, s15, 24
	s_mul_hi_u32 s17, s14, 24
	s_mul_i32 s18, s14, 24
	s_add_i32 s16, s17, s16
	v_mov_b32_e32 v0, s16
	s_waitcnt vmcnt(0)
	v_add_co_u32_e32 v8, vcc, s18, v4
	v_addc_co_u32_e32 v9, vcc, v5, v0, vcc
	s_and_saveexec_b64 s[16:17], s[4:5]
	s_cbranch_execz .LBB2_95
; %bb.94:
	v_pk_mov_b32 v[12:13], s[12:13], s[12:13] op_sel:[0,1]
	v_mov_b32_e32 v14, 2
	v_mov_b32_e32 v15, 1
	global_store_dwordx4 v[8:9], v[12:15], off offset:8
.LBB2_95:
	s_or_b64 exec, exec, s[16:17]
	s_lshl_b64 s[12:13], s[14:15], 12
	v_mov_b32_e32 v0, s13
	v_add_co_u32_e32 v12, vcc, s12, v6
	s_movk_i32 s12, 0xff1f
	v_addc_co_u32_e32 v11, vcc, v7, v0, vcc
	v_and_or_b32 v0, v3, s12, 32
	s_mov_b32 s12, 0
	v_lshlrev_b32_e32 v10, 6, v10
	v_mov_b32_e32 v3, v2
	v_readfirstlane_b32 s16, v12
	v_readfirstlane_b32 s17, v11
	s_mov_b32 s13, s12
	v_add_co_u32_e32 v6, vcc, v12, v10
	s_mov_b32 s14, s12
	s_mov_b32 s15, s12
	s_nop 0
	global_store_dwordx4 v10, v[0:3], s[16:17]
	v_addc_co_u32_e32 v7, vcc, 0, v11, vcc
	v_pk_mov_b32 v[0:1], s[12:13], s[12:13] op_sel:[0,1]
	v_pk_mov_b32 v[2:3], s[14:15], s[14:15] op_sel:[0,1]
	global_store_dwordx4 v10, v[0:3], s[16:17] offset:16
	global_store_dwordx4 v10, v[0:3], s[16:17] offset:32
	;; [unrolled: 1-line block ×3, first 2 shown]
	s_and_saveexec_b64 s[12:13], s[4:5]
	s_cbranch_execz .LBB2_103
; %bb.96:
	v_mov_b32_e32 v10, 0
	global_load_dwordx2 v[14:15], v10, s[8:9] offset:32 glc
	global_load_dwordx2 v[0:1], v10, s[8:9] offset:40
	v_mov_b32_e32 v12, s10
	v_mov_b32_e32 v13, s11
	s_waitcnt vmcnt(0)
	v_and_b32_e32 v0, s10, v0
	v_and_b32_e32 v1, s11, v1
	v_mul_lo_u32 v1, v1, 24
	v_mul_hi_u32 v2, v0, 24
	v_mul_lo_u32 v0, v0, 24
	v_add_u32_e32 v1, v2, v1
	v_add_co_u32_e32 v4, vcc, v4, v0
	v_addc_co_u32_e32 v5, vcc, v5, v1, vcc
	global_store_dwordx2 v[4:5], v[14:15], off
	buffer_wbl2
	s_waitcnt vmcnt(0)
	global_atomic_cmpswap_x2 v[2:3], v10, v[12:15], s[8:9] offset:32 glc
	s_waitcnt vmcnt(0)
	v_cmp_ne_u64_e32 vcc, v[2:3], v[14:15]
	s_and_saveexec_b64 s[14:15], vcc
	s_cbranch_execz .LBB2_99
; %bb.97:
	s_mov_b64 s[16:17], 0
.LBB2_98:                               ; =>This Inner Loop Header: Depth=1
	s_sleep 1
	global_store_dwordx2 v[4:5], v[2:3], off
	v_mov_b32_e32 v0, s10
	v_mov_b32_e32 v1, s11
	buffer_wbl2
	s_waitcnt vmcnt(0)
	global_atomic_cmpswap_x2 v[0:1], v10, v[0:3], s[8:9] offset:32 glc
	s_waitcnt vmcnt(0)
	v_cmp_eq_u64_e32 vcc, v[0:1], v[2:3]
	s_or_b64 s[16:17], vcc, s[16:17]
	v_pk_mov_b32 v[2:3], v[0:1], v[0:1] op_sel:[0,1]
	s_andn2_b64 exec, exec, s[16:17]
	s_cbranch_execnz .LBB2_98
.LBB2_99:
	s_or_b64 exec, exec, s[14:15]
	v_mov_b32_e32 v3, 0
	global_load_dwordx2 v[0:1], v3, s[8:9] offset:16
	s_mov_b64 s[14:15], exec
	v_mbcnt_lo_u32_b32 v2, s14, 0
	v_mbcnt_hi_u32_b32 v2, s15, v2
	v_cmp_eq_u32_e32 vcc, 0, v2
	s_and_saveexec_b64 s[16:17], vcc
	s_cbranch_execz .LBB2_101
; %bb.100:
	s_bcnt1_i32_b64 s14, s[14:15]
	v_mov_b32_e32 v2, s14
	buffer_wbl2
	s_waitcnt vmcnt(0)
	global_atomic_add_x2 v[0:1], v[2:3], off offset:8
.LBB2_101:
	s_or_b64 exec, exec, s[16:17]
	s_waitcnt vmcnt(0)
	global_load_dwordx2 v[2:3], v[0:1], off offset:16
	s_waitcnt vmcnt(0)
	v_cmp_eq_u64_e32 vcc, 0, v[2:3]
	s_cbranch_vccnz .LBB2_103
; %bb.102:
	global_load_dword v0, v[0:1], off offset:24
	v_mov_b32_e32 v1, 0
	buffer_wbl2
	s_waitcnt vmcnt(0)
	global_store_dwordx2 v[2:3], v[0:1], off
	v_and_b32_e32 v0, 0xffffff, v0
	v_readfirstlane_b32 m0, v0
	s_sendmsg sendmsg(MSG_INTERRUPT)
.LBB2_103:
	s_or_b64 exec, exec, s[12:13]
	s_branch .LBB2_107
.LBB2_104:                              ;   in Loop: Header=BB2_107 Depth=1
	s_or_b64 exec, exec, s[12:13]
	v_readfirstlane_b32 s12, v0
	s_cmp_eq_u32 s12, 0
	s_cbranch_scc1 .LBB2_106
; %bb.105:                              ;   in Loop: Header=BB2_107 Depth=1
	s_sleep 1
	s_cbranch_execnz .LBB2_107
	s_branch .LBB2_110
.LBB2_106:
	s_branch .LBB2_110
.LBB2_107:                              ; =>This Inner Loop Header: Depth=1
	v_mov_b32_e32 v0, 1
	s_and_saveexec_b64 s[12:13], s[4:5]
	s_cbranch_execz .LBB2_104
; %bb.108:                              ;   in Loop: Header=BB2_107 Depth=1
	global_load_dword v0, v[8:9], off offset:20 glc
	s_waitcnt vmcnt(0)
	buffer_invl2
	buffer_wbinvl1_vol
	v_and_b32_e32 v0, 1, v0
	s_branch .LBB2_104
.LBB2_109:
	s_or_b64 exec, exec, s[6:7]
	s_waitcnt vmcnt(0) lgkmcnt(0)
	s_setpc_b64 s[30:31]
.LBB2_110:
	global_load_dwordx2 v[0:1], v[6:7], off
	s_and_saveexec_b64 s[12:13], s[4:5]
	s_cbranch_execz .LBB2_113
; %bb.111:
	v_mov_b32_e32 v8, 0
	global_load_dwordx2 v[6:7], v8, s[8:9] offset:40
	global_load_dwordx2 v[10:11], v8, s[8:9] offset:24 glc
	global_load_dwordx2 v[12:13], v8, s[8:9]
	v_mov_b32_e32 v3, s11
	s_mov_b64 s[4:5], 0
	s_waitcnt vmcnt(2)
	v_add_co_u32_e32 v5, vcc, 1, v6
	v_addc_co_u32_e32 v9, vcc, 0, v7, vcc
	v_add_co_u32_e32 v2, vcc, s10, v5
	v_addc_co_u32_e32 v3, vcc, v9, v3, vcc
	v_cmp_eq_u64_e32 vcc, 0, v[2:3]
	v_cndmask_b32_e32 v3, v3, v9, vcc
	v_cndmask_b32_e32 v2, v2, v5, vcc
	v_and_b32_e32 v5, v3, v7
	v_and_b32_e32 v6, v2, v6
	v_mul_lo_u32 v5, v5, 24
	v_mul_hi_u32 v7, v6, 24
	v_mul_lo_u32 v6, v6, 24
	v_add_u32_e32 v5, v7, v5
	s_waitcnt vmcnt(0)
	v_add_co_u32_e32 v6, vcc, v12, v6
	v_addc_co_u32_e32 v7, vcc, v13, v5, vcc
	v_mov_b32_e32 v4, v10
	global_store_dwordx2 v[6:7], v[10:11], off
	v_mov_b32_e32 v5, v11
	buffer_wbl2
	s_waitcnt vmcnt(0)
	global_atomic_cmpswap_x2 v[4:5], v8, v[2:5], s[8:9] offset:24 glc
	s_waitcnt vmcnt(0)
	v_cmp_ne_u64_e32 vcc, v[4:5], v[10:11]
	s_and_b64 exec, exec, vcc
	s_cbranch_execz .LBB2_113
.LBB2_112:                              ; =>This Inner Loop Header: Depth=1
	s_sleep 1
	global_store_dwordx2 v[6:7], v[4:5], off
	buffer_wbl2
	s_waitcnt vmcnt(0)
	global_atomic_cmpswap_x2 v[10:11], v8, v[2:5], s[8:9] offset:24 glc
	s_waitcnt vmcnt(0)
	v_cmp_eq_u64_e32 vcc, v[10:11], v[4:5]
	s_or_b64 s[4:5], vcc, s[4:5]
	v_pk_mov_b32 v[4:5], v[10:11], v[10:11] op_sel:[0,1]
	s_andn2_b64 exec, exec, s[4:5]
	s_cbranch_execnz .LBB2_112
.LBB2_113:
	s_or_b64 exec, exec, s[12:13]
	s_or_b64 exec, exec, s[6:7]
	s_waitcnt vmcnt(0) lgkmcnt(0)
	s_setpc_b64 s[30:31]
.Lfunc_end2:
	.size	__ockl_printf_append_string_n, .Lfunc_end2-__ockl_printf_append_string_n
                                        ; -- End function
	.section	.AMDGPU.csdata,"",@progbits
; Function info:
; codeLenInByte = 4384
; NumSgprs: 36
; NumVgprs: 38
; NumAgprs: 0
; TotalNumVgprs: 38
; ScratchSize: 0
; MemoryBound: 0
	.text
	.p2align	2                               ; -- Begin function __ockl_printf_append_args
	.type	__ockl_printf_append_args,@function
__ockl_printf_append_args:              ; @__ockl_printf_append_args
; %bb.0:
	s_waitcnt vmcnt(0) expcnt(0) lgkmcnt(0)
	s_load_dwordx2 s[6:7], s[8:9], 0x50
	v_mbcnt_lo_u32_b32 v5, -1, 0
	v_mbcnt_hi_u32_b32 v5, -1, v5
	v_readfirstlane_b32 s4, v5
	v_cmp_eq_u32_e64 s[4:5], s4, v5
	v_pk_mov_b32 v[10:11], 0, 0
	s_and_saveexec_b64 s[8:9], s[4:5]
	s_cbranch_execz .LBB3_6
; %bb.1:
	v_mov_b32_e32 v6, 0
	s_waitcnt lgkmcnt(0)
	global_load_dwordx2 v[12:13], v6, s[6:7] offset:24 glc
	s_waitcnt vmcnt(0)
	buffer_invl2
	buffer_wbinvl1_vol
	global_load_dwordx2 v[8:9], v6, s[6:7] offset:40
	global_load_dwordx2 v[10:11], v6, s[6:7]
	s_waitcnt vmcnt(1)
	v_and_b32_e32 v7, v8, v12
	v_and_b32_e32 v8, v9, v13
	v_mul_lo_u32 v8, v8, 24
	v_mul_hi_u32 v9, v7, 24
	v_mul_lo_u32 v7, v7, 24
	v_add_u32_e32 v9, v9, v8
	s_waitcnt vmcnt(0)
	v_add_co_u32_e32 v8, vcc, v10, v7
	v_addc_co_u32_e32 v9, vcc, v11, v9, vcc
	global_load_dwordx2 v[10:11], v[8:9], off glc
	s_waitcnt vmcnt(0)
	global_atomic_cmpswap_x2 v[10:11], v6, v[10:13], s[6:7] offset:24 glc
	s_waitcnt vmcnt(0)
	buffer_invl2
	buffer_wbinvl1_vol
	v_cmp_ne_u64_e32 vcc, v[10:11], v[12:13]
	s_and_saveexec_b64 s[10:11], vcc
	s_cbranch_execz .LBB3_5
; %bb.2:
	s_mov_b64 s[12:13], 0
.LBB3_3:                                ; =>This Inner Loop Header: Depth=1
	s_sleep 1
	global_load_dwordx2 v[8:9], v6, s[6:7] offset:40
	global_load_dwordx2 v[14:15], v6, s[6:7]
	v_pk_mov_b32 v[12:13], v[10:11], v[10:11] op_sel:[0,1]
	s_waitcnt vmcnt(1)
	v_and_b32_e32 v8, v8, v12
	v_and_b32_e32 v7, v9, v13
	s_waitcnt vmcnt(0)
	v_mad_u64_u32 v[8:9], s[14:15], v8, 24, v[14:15]
	v_mov_b32_e32 v10, v9
	v_mad_u64_u32 v[10:11], s[14:15], v7, 24, v[10:11]
	v_mov_b32_e32 v9, v10
	global_load_dwordx2 v[10:11], v[8:9], off glc
	s_waitcnt vmcnt(0)
	global_atomic_cmpswap_x2 v[10:11], v6, v[10:13], s[6:7] offset:24 glc
	s_waitcnt vmcnt(0)
	buffer_invl2
	buffer_wbinvl1_vol
	v_cmp_eq_u64_e32 vcc, v[10:11], v[12:13]
	s_or_b64 s[12:13], vcc, s[12:13]
	s_andn2_b64 exec, exec, s[12:13]
	s_cbranch_execnz .LBB3_3
; %bb.4:
	s_or_b64 exec, exec, s[12:13]
.LBB3_5:
	s_or_b64 exec, exec, s[10:11]
.LBB3_6:
	s_or_b64 exec, exec, s[8:9]
	v_mov_b32_e32 v14, 0
	s_waitcnt lgkmcnt(0)
	global_load_dwordx2 v[12:13], v14, s[6:7] offset:40
	global_load_dwordx4 v[6:9], v14, s[6:7]
	v_readfirstlane_b32 s8, v10
	v_readfirstlane_b32 s9, v11
	s_mov_b64 s[10:11], exec
	s_waitcnt vmcnt(1)
	v_readfirstlane_b32 s12, v12
	v_readfirstlane_b32 s13, v13
	s_and_b64 s[12:13], s[8:9], s[12:13]
	s_mul_i32 s14, s13, 24
	s_mul_hi_u32 s15, s12, 24
	s_mul_i32 s16, s12, 24
	s_add_i32 s14, s15, s14
	v_mov_b32_e32 v11, s14
	s_waitcnt vmcnt(0)
	v_add_co_u32_e32 v10, vcc, s16, v6
	v_addc_co_u32_e32 v11, vcc, v7, v11, vcc
	s_and_saveexec_b64 s[14:15], s[4:5]
	s_cbranch_execz .LBB3_8
; %bb.7:
	v_pk_mov_b32 v[12:13], s[10:11], s[10:11] op_sel:[0,1]
	v_mov_b32_e32 v14, 2
	v_mov_b32_e32 v15, 1
	global_store_dwordx4 v[10:11], v[12:15], off offset:8
.LBB3_8:
	s_or_b64 exec, exec, s[14:15]
	s_lshl_b64 s[10:11], s[12:13], 12
	v_mov_b32_e32 v12, s11
	v_add_co_u32_e32 v8, vcc, s10, v8
	v_addc_co_u32_e32 v9, vcc, v9, v12, vcc
	v_or_b32_e32 v12, 2, v0
	v_cmp_eq_u32_e32 vcc, 0, v4
	s_mov_b32 s12, 0
	v_cndmask_b32_e32 v0, v12, v0, vcc
	s_movk_i32 s10, 0xff1f
	v_and_or_b32 v0, v0, s10, 32
	v_lshlrev_b32_e32 v12, 6, v5
	v_readfirstlane_b32 s10, v8
	v_readfirstlane_b32 s11, v9
	s_mov_b32 s13, s12
	v_add_co_u32_e32 v4, vcc, v8, v12
	s_mov_b32 s14, s12
	s_mov_b32 s15, s12
	s_nop 0
	global_store_dwordx4 v12, v[0:3], s[10:11]
	v_addc_co_u32_e32 v5, vcc, 0, v9, vcc
	v_pk_mov_b32 v[0:1], s[12:13], s[12:13] op_sel:[0,1]
	v_pk_mov_b32 v[2:3], s[14:15], s[14:15] op_sel:[0,1]
	global_store_dwordx4 v12, v[0:3], s[10:11] offset:16
	global_store_dwordx4 v12, v[0:3], s[10:11] offset:32
	;; [unrolled: 1-line block ×3, first 2 shown]
	s_and_saveexec_b64 s[10:11], s[4:5]
	s_cbranch_execz .LBB3_16
; %bb.9:
	v_mov_b32_e32 v8, 0
	global_load_dwordx2 v[14:15], v8, s[6:7] offset:32 glc
	global_load_dwordx2 v[0:1], v8, s[6:7] offset:40
	v_mov_b32_e32 v12, s8
	v_mov_b32_e32 v13, s9
	s_waitcnt vmcnt(0)
	v_and_b32_e32 v0, s8, v0
	v_and_b32_e32 v1, s9, v1
	v_mul_lo_u32 v1, v1, 24
	v_mul_hi_u32 v2, v0, 24
	v_mul_lo_u32 v0, v0, 24
	v_add_u32_e32 v1, v2, v1
	v_add_co_u32_e32 v6, vcc, v6, v0
	v_addc_co_u32_e32 v7, vcc, v7, v1, vcc
	global_store_dwordx2 v[6:7], v[14:15], off
	buffer_wbl2
	s_waitcnt vmcnt(0)
	global_atomic_cmpswap_x2 v[2:3], v8, v[12:15], s[6:7] offset:32 glc
	s_waitcnt vmcnt(0)
	v_cmp_ne_u64_e32 vcc, v[2:3], v[14:15]
	s_and_saveexec_b64 s[12:13], vcc
	s_cbranch_execz .LBB3_12
; %bb.10:
	s_mov_b64 s[14:15], 0
.LBB3_11:                               ; =>This Inner Loop Header: Depth=1
	s_sleep 1
	global_store_dwordx2 v[6:7], v[2:3], off
	v_mov_b32_e32 v0, s8
	v_mov_b32_e32 v1, s9
	buffer_wbl2
	s_waitcnt vmcnt(0)
	global_atomic_cmpswap_x2 v[0:1], v8, v[0:3], s[6:7] offset:32 glc
	s_waitcnt vmcnt(0)
	v_cmp_eq_u64_e32 vcc, v[0:1], v[2:3]
	s_or_b64 s[14:15], vcc, s[14:15]
	v_pk_mov_b32 v[2:3], v[0:1], v[0:1] op_sel:[0,1]
	s_andn2_b64 exec, exec, s[14:15]
	s_cbranch_execnz .LBB3_11
.LBB3_12:
	s_or_b64 exec, exec, s[12:13]
	v_mov_b32_e32 v3, 0
	global_load_dwordx2 v[0:1], v3, s[6:7] offset:16
	s_mov_b64 s[12:13], exec
	v_mbcnt_lo_u32_b32 v2, s12, 0
	v_mbcnt_hi_u32_b32 v2, s13, v2
	v_cmp_eq_u32_e32 vcc, 0, v2
	s_and_saveexec_b64 s[14:15], vcc
	s_cbranch_execz .LBB3_14
; %bb.13:
	s_bcnt1_i32_b64 s12, s[12:13]
	v_mov_b32_e32 v2, s12
	buffer_wbl2
	s_waitcnt vmcnt(0)
	global_atomic_add_x2 v[0:1], v[2:3], off offset:8
.LBB3_14:
	s_or_b64 exec, exec, s[14:15]
	s_waitcnt vmcnt(0)
	global_load_dwordx2 v[2:3], v[0:1], off offset:16
	s_waitcnt vmcnt(0)
	v_cmp_eq_u64_e32 vcc, 0, v[2:3]
	s_cbranch_vccnz .LBB3_16
; %bb.15:
	global_load_dword v0, v[0:1], off offset:24
	v_mov_b32_e32 v1, 0
	buffer_wbl2
	s_waitcnt vmcnt(0)
	global_store_dwordx2 v[2:3], v[0:1], off
	v_and_b32_e32 v0, 0xffffff, v0
	v_readfirstlane_b32 m0, v0
	s_sendmsg sendmsg(MSG_INTERRUPT)
.LBB3_16:
	s_or_b64 exec, exec, s[10:11]
	s_branch .LBB3_20
.LBB3_17:                               ;   in Loop: Header=BB3_20 Depth=1
	s_or_b64 exec, exec, s[10:11]
	v_readfirstlane_b32 s10, v0
	s_cmp_eq_u32 s10, 0
	s_cbranch_scc1 .LBB3_19
; %bb.18:                               ;   in Loop: Header=BB3_20 Depth=1
	s_sleep 1
	s_cbranch_execnz .LBB3_20
	s_branch .LBB3_22
.LBB3_19:
	s_branch .LBB3_22
.LBB3_20:                               ; =>This Inner Loop Header: Depth=1
	v_mov_b32_e32 v0, 1
	s_and_saveexec_b64 s[10:11], s[4:5]
	s_cbranch_execz .LBB3_17
; %bb.21:                               ;   in Loop: Header=BB3_20 Depth=1
	global_load_dword v0, v[10:11], off offset:20 glc
	s_waitcnt vmcnt(0)
	buffer_invl2
	buffer_wbinvl1_vol
	v_and_b32_e32 v0, 1, v0
	s_branch .LBB3_17
.LBB3_22:
	global_load_dwordx2 v[0:1], v[4:5], off
	s_and_saveexec_b64 s[10:11], s[4:5]
	s_cbranch_execz .LBB3_25
; %bb.23:
	v_mov_b32_e32 v8, 0
	global_load_dwordx2 v[6:7], v8, s[6:7] offset:40
	global_load_dwordx2 v[10:11], v8, s[6:7] offset:24 glc
	global_load_dwordx2 v[12:13], v8, s[6:7]
	v_mov_b32_e32 v3, s9
	s_mov_b64 s[4:5], 0
	s_waitcnt vmcnt(2)
	v_add_co_u32_e32 v5, vcc, 1, v6
	v_addc_co_u32_e32 v9, vcc, 0, v7, vcc
	v_add_co_u32_e32 v2, vcc, s8, v5
	v_addc_co_u32_e32 v3, vcc, v9, v3, vcc
	v_cmp_eq_u64_e32 vcc, 0, v[2:3]
	v_cndmask_b32_e32 v3, v3, v9, vcc
	v_cndmask_b32_e32 v2, v2, v5, vcc
	v_and_b32_e32 v5, v3, v7
	v_and_b32_e32 v6, v2, v6
	v_mul_lo_u32 v5, v5, 24
	v_mul_hi_u32 v7, v6, 24
	v_mul_lo_u32 v6, v6, 24
	v_add_u32_e32 v5, v7, v5
	s_waitcnt vmcnt(0)
	v_add_co_u32_e32 v6, vcc, v12, v6
	v_addc_co_u32_e32 v7, vcc, v13, v5, vcc
	v_mov_b32_e32 v4, v10
	global_store_dwordx2 v[6:7], v[10:11], off
	v_mov_b32_e32 v5, v11
	buffer_wbl2
	s_waitcnt vmcnt(0)
	global_atomic_cmpswap_x2 v[4:5], v8, v[2:5], s[6:7] offset:24 glc
	s_waitcnt vmcnt(0)
	v_cmp_ne_u64_e32 vcc, v[4:5], v[10:11]
	s_and_b64 exec, exec, vcc
	s_cbranch_execz .LBB3_25
.LBB3_24:                               ; =>This Inner Loop Header: Depth=1
	s_sleep 1
	global_store_dwordx2 v[6:7], v[4:5], off
	buffer_wbl2
	s_waitcnt vmcnt(0)
	global_atomic_cmpswap_x2 v[10:11], v8, v[2:5], s[6:7] offset:24 glc
	s_waitcnt vmcnt(0)
	v_cmp_eq_u64_e32 vcc, v[10:11], v[4:5]
	s_or_b64 s[4:5], vcc, s[4:5]
	v_pk_mov_b32 v[4:5], v[10:11], v[10:11] op_sel:[0,1]
	s_andn2_b64 exec, exec, s[4:5]
	s_cbranch_execnz .LBB3_24
.LBB3_25:
	s_or_b64 exec, exec, s[10:11]
	s_waitcnt vmcnt(0) lgkmcnt(0)
	s_setpc_b64 s[30:31]
.Lfunc_end3:
	.size	__ockl_printf_append_args, .Lfunc_end3-__ockl_printf_append_args
                                        ; -- End function
	.section	.AMDGPU.csdata,"",@progbits
; Function info:
; codeLenInByte = 1296
; NumSgprs: 36
; NumVgprs: 16
; NumAgprs: 0
; TotalNumVgprs: 16
; ScratchSize: 0
; MemoryBound: 0
	.text
	.p2align	2                               ; -- Begin function __ockl_printf_begin
	.type	__ockl_printf_begin,@function
__ockl_printf_begin:                    ; @__ockl_printf_begin
; %bb.0:
	s_waitcnt vmcnt(0) expcnt(0) lgkmcnt(0)
	s_load_dwordx2 s[6:7], s[8:9], 0x50
	v_mbcnt_lo_u32_b32 v0, -1, 0
	v_mbcnt_hi_u32_b32 v4, -1, v0
	v_readfirstlane_b32 s4, v4
	v_cmp_eq_u32_e64 s[4:5], s4, v4
	v_pk_mov_b32 v[6:7], 0, 0
	s_and_saveexec_b64 s[8:9], s[4:5]
	s_cbranch_execz .LBB4_6
; %bb.1:
	v_mov_b32_e32 v0, 0
	s_waitcnt lgkmcnt(0)
	global_load_dwordx2 v[8:9], v0, s[6:7] offset:24 glc
	s_waitcnt vmcnt(0)
	buffer_invl2
	buffer_wbinvl1_vol
	global_load_dwordx2 v[2:3], v0, s[6:7] offset:40
	global_load_dwordx2 v[6:7], v0, s[6:7]
	s_waitcnt vmcnt(1)
	v_and_b32_e32 v1, v2, v8
	v_and_b32_e32 v2, v3, v9
	v_mul_lo_u32 v2, v2, 24
	v_mul_hi_u32 v3, v1, 24
	v_mul_lo_u32 v1, v1, 24
	v_add_u32_e32 v3, v3, v2
	s_waitcnt vmcnt(0)
	v_add_co_u32_e32 v2, vcc, v6, v1
	v_addc_co_u32_e32 v3, vcc, v7, v3, vcc
	global_load_dwordx2 v[6:7], v[2:3], off glc
	s_waitcnt vmcnt(0)
	global_atomic_cmpswap_x2 v[6:7], v0, v[6:9], s[6:7] offset:24 glc
	s_waitcnt vmcnt(0)
	buffer_invl2
	buffer_wbinvl1_vol
	v_cmp_ne_u64_e32 vcc, v[6:7], v[8:9]
	s_and_saveexec_b64 s[10:11], vcc
	s_cbranch_execz .LBB4_5
; %bb.2:
	s_mov_b64 s[12:13], 0
.LBB4_3:                                ; =>This Inner Loop Header: Depth=1
	s_sleep 1
	global_load_dwordx2 v[2:3], v0, s[6:7] offset:40
	global_load_dwordx2 v[10:11], v0, s[6:7]
	v_pk_mov_b32 v[8:9], v[6:7], v[6:7] op_sel:[0,1]
	s_waitcnt vmcnt(1)
	v_and_b32_e32 v2, v2, v8
	v_and_b32_e32 v1, v3, v9
	s_waitcnt vmcnt(0)
	v_mad_u64_u32 v[2:3], s[14:15], v2, 24, v[10:11]
	v_mov_b32_e32 v6, v3
	v_mad_u64_u32 v[6:7], s[14:15], v1, 24, v[6:7]
	v_mov_b32_e32 v3, v6
	global_load_dwordx2 v[6:7], v[2:3], off glc
	s_waitcnt vmcnt(0)
	global_atomic_cmpswap_x2 v[6:7], v0, v[6:9], s[6:7] offset:24 glc
	s_waitcnt vmcnt(0)
	buffer_invl2
	buffer_wbinvl1_vol
	v_cmp_eq_u64_e32 vcc, v[6:7], v[8:9]
	s_or_b64 s[12:13], vcc, s[12:13]
	s_andn2_b64 exec, exec, s[12:13]
	s_cbranch_execnz .LBB4_3
; %bb.4:
	s_or_b64 exec, exec, s[12:13]
.LBB4_5:
	s_or_b64 exec, exec, s[10:11]
.LBB4_6:
	s_or_b64 exec, exec, s[8:9]
	v_mov_b32_e32 v5, 0
	s_waitcnt lgkmcnt(0)
	global_load_dwordx2 v[8:9], v5, s[6:7] offset:40
	global_load_dwordx4 v[0:3], v5, s[6:7]
	v_readfirstlane_b32 s8, v6
	v_readfirstlane_b32 s9, v7
	s_mov_b64 s[10:11], exec
	s_waitcnt vmcnt(1)
	v_readfirstlane_b32 s12, v8
	v_readfirstlane_b32 s13, v9
	s_and_b64 s[12:13], s[8:9], s[12:13]
	s_mul_i32 s14, s13, 24
	s_mul_hi_u32 s15, s12, 24
	s_mul_i32 s16, s12, 24
	s_add_i32 s14, s15, s14
	v_mov_b32_e32 v6, s14
	s_waitcnt vmcnt(0)
	v_add_co_u32_e32 v8, vcc, s16, v0
	v_addc_co_u32_e32 v9, vcc, v1, v6, vcc
	s_and_saveexec_b64 s[14:15], s[4:5]
	s_cbranch_execz .LBB4_8
; %bb.7:
	v_pk_mov_b32 v[10:11], s[10:11], s[10:11] op_sel:[0,1]
	v_mov_b32_e32 v12, 2
	v_mov_b32_e32 v13, 1
	global_store_dwordx4 v[8:9], v[10:13], off offset:8
.LBB4_8:
	s_or_b64 exec, exec, s[14:15]
	s_lshl_b64 s[10:11], s[12:13], 12
	v_mov_b32_e32 v6, s11
	v_add_co_u32_e32 v2, vcc, s10, v2
	v_addc_co_u32_e32 v3, vcc, v3, v6, vcc
	v_lshlrev_b32_e32 v12, 6, v4
	s_mov_b32 s12, 0
	v_add_co_u32_e32 v10, vcc, v2, v12
	v_mov_b32_e32 v4, 33
	v_mov_b32_e32 v6, v5
	;; [unrolled: 1-line block ×3, first 2 shown]
	v_readfirstlane_b32 s10, v2
	v_readfirstlane_b32 s11, v3
	s_mov_b32 s13, s12
	v_addc_co_u32_e32 v11, vcc, 0, v3, vcc
	s_mov_b32 s14, s12
	s_mov_b32 s15, s12
	s_nop 0
	global_store_dwordx4 v12, v[4:7], s[10:11]
	v_pk_mov_b32 v[2:3], s[12:13], s[12:13] op_sel:[0,1]
	v_pk_mov_b32 v[4:5], s[14:15], s[14:15] op_sel:[0,1]
	global_store_dwordx4 v12, v[2:5], s[10:11] offset:16
	global_store_dwordx4 v12, v[2:5], s[10:11] offset:32
	;; [unrolled: 1-line block ×3, first 2 shown]
	s_and_saveexec_b64 s[10:11], s[4:5]
	s_cbranch_execz .LBB4_16
; %bb.9:
	v_mov_b32_e32 v6, 0
	global_load_dwordx2 v[14:15], v6, s[6:7] offset:32 glc
	global_load_dwordx2 v[2:3], v6, s[6:7] offset:40
	v_mov_b32_e32 v12, s8
	v_mov_b32_e32 v13, s9
	s_waitcnt vmcnt(0)
	v_and_b32_e32 v2, s8, v2
	v_and_b32_e32 v3, s9, v3
	v_mul_lo_u32 v3, v3, 24
	v_mul_hi_u32 v4, v2, 24
	v_mul_lo_u32 v2, v2, 24
	v_add_u32_e32 v3, v4, v3
	v_add_co_u32_e32 v4, vcc, v0, v2
	v_addc_co_u32_e32 v5, vcc, v1, v3, vcc
	global_store_dwordx2 v[4:5], v[14:15], off
	buffer_wbl2
	s_waitcnt vmcnt(0)
	global_atomic_cmpswap_x2 v[2:3], v6, v[12:15], s[6:7] offset:32 glc
	s_waitcnt vmcnt(0)
	v_cmp_ne_u64_e32 vcc, v[2:3], v[14:15]
	s_and_saveexec_b64 s[12:13], vcc
	s_cbranch_execz .LBB4_12
; %bb.10:
	s_mov_b64 s[14:15], 0
.LBB4_11:                               ; =>This Inner Loop Header: Depth=1
	s_sleep 1
	global_store_dwordx2 v[4:5], v[2:3], off
	v_mov_b32_e32 v0, s8
	v_mov_b32_e32 v1, s9
	buffer_wbl2
	s_waitcnt vmcnt(0)
	global_atomic_cmpswap_x2 v[0:1], v6, v[0:3], s[6:7] offset:32 glc
	s_waitcnt vmcnt(0)
	v_cmp_eq_u64_e32 vcc, v[0:1], v[2:3]
	s_or_b64 s[14:15], vcc, s[14:15]
	v_pk_mov_b32 v[2:3], v[0:1], v[0:1] op_sel:[0,1]
	s_andn2_b64 exec, exec, s[14:15]
	s_cbranch_execnz .LBB4_11
.LBB4_12:
	s_or_b64 exec, exec, s[12:13]
	v_mov_b32_e32 v3, 0
	global_load_dwordx2 v[0:1], v3, s[6:7] offset:16
	s_mov_b64 s[12:13], exec
	v_mbcnt_lo_u32_b32 v2, s12, 0
	v_mbcnt_hi_u32_b32 v2, s13, v2
	v_cmp_eq_u32_e32 vcc, 0, v2
	s_and_saveexec_b64 s[14:15], vcc
	s_cbranch_execz .LBB4_14
; %bb.13:
	s_bcnt1_i32_b64 s12, s[12:13]
	v_mov_b32_e32 v2, s12
	buffer_wbl2
	s_waitcnt vmcnt(0)
	global_atomic_add_x2 v[0:1], v[2:3], off offset:8
.LBB4_14:
	s_or_b64 exec, exec, s[14:15]
	s_waitcnt vmcnt(0)
	global_load_dwordx2 v[2:3], v[0:1], off offset:16
	s_waitcnt vmcnt(0)
	v_cmp_eq_u64_e32 vcc, 0, v[2:3]
	s_cbranch_vccnz .LBB4_16
; %bb.15:
	global_load_dword v0, v[0:1], off offset:24
	v_mov_b32_e32 v1, 0
	buffer_wbl2
	s_waitcnt vmcnt(0)
	global_store_dwordx2 v[2:3], v[0:1], off
	v_and_b32_e32 v0, 0xffffff, v0
	v_readfirstlane_b32 m0, v0
	s_sendmsg sendmsg(MSG_INTERRUPT)
.LBB4_16:
	s_or_b64 exec, exec, s[10:11]
	s_branch .LBB4_20
.LBB4_17:                               ;   in Loop: Header=BB4_20 Depth=1
	s_or_b64 exec, exec, s[10:11]
	v_readfirstlane_b32 s10, v0
	s_cmp_eq_u32 s10, 0
	s_cbranch_scc1 .LBB4_19
; %bb.18:                               ;   in Loop: Header=BB4_20 Depth=1
	s_sleep 1
	s_cbranch_execnz .LBB4_20
	s_branch .LBB4_22
.LBB4_19:
	s_branch .LBB4_22
.LBB4_20:                               ; =>This Inner Loop Header: Depth=1
	v_mov_b32_e32 v0, 1
	s_and_saveexec_b64 s[10:11], s[4:5]
	s_cbranch_execz .LBB4_17
; %bb.21:                               ;   in Loop: Header=BB4_20 Depth=1
	global_load_dword v0, v[8:9], off offset:20 glc
	s_waitcnt vmcnt(0)
	buffer_invl2
	buffer_wbinvl1_vol
	v_and_b32_e32 v0, 1, v0
	s_branch .LBB4_17
.LBB4_22:
	global_load_dwordx2 v[0:1], v[10:11], off
	s_and_saveexec_b64 s[10:11], s[4:5]
	s_cbranch_execz .LBB4_25
; %bb.23:
	v_mov_b32_e32 v8, 0
	global_load_dwordx2 v[6:7], v8, s[6:7] offset:40
	global_load_dwordx2 v[10:11], v8, s[6:7] offset:24 glc
	global_load_dwordx2 v[12:13], v8, s[6:7]
	v_mov_b32_e32 v3, s9
	s_mov_b64 s[4:5], 0
	s_waitcnt vmcnt(2)
	v_add_co_u32_e32 v5, vcc, 1, v6
	v_addc_co_u32_e32 v9, vcc, 0, v7, vcc
	v_add_co_u32_e32 v2, vcc, s8, v5
	v_addc_co_u32_e32 v3, vcc, v9, v3, vcc
	v_cmp_eq_u64_e32 vcc, 0, v[2:3]
	v_cndmask_b32_e32 v3, v3, v9, vcc
	v_cndmask_b32_e32 v2, v2, v5, vcc
	v_and_b32_e32 v5, v3, v7
	v_and_b32_e32 v6, v2, v6
	v_mul_lo_u32 v5, v5, 24
	v_mul_hi_u32 v7, v6, 24
	v_mul_lo_u32 v6, v6, 24
	v_add_u32_e32 v5, v7, v5
	s_waitcnt vmcnt(0)
	v_add_co_u32_e32 v6, vcc, v12, v6
	v_addc_co_u32_e32 v7, vcc, v13, v5, vcc
	v_mov_b32_e32 v4, v10
	global_store_dwordx2 v[6:7], v[10:11], off
	v_mov_b32_e32 v5, v11
	buffer_wbl2
	s_waitcnt vmcnt(0)
	global_atomic_cmpswap_x2 v[4:5], v8, v[2:5], s[6:7] offset:24 glc
	s_waitcnt vmcnt(0)
	v_cmp_ne_u64_e32 vcc, v[4:5], v[10:11]
	s_and_b64 exec, exec, vcc
	s_cbranch_execz .LBB4_25
.LBB4_24:                               ; =>This Inner Loop Header: Depth=1
	s_sleep 1
	global_store_dwordx2 v[6:7], v[4:5], off
	buffer_wbl2
	s_waitcnt vmcnt(0)
	global_atomic_cmpswap_x2 v[10:11], v8, v[2:5], s[6:7] offset:24 glc
	s_waitcnt vmcnt(0)
	v_cmp_eq_u64_e32 vcc, v[10:11], v[4:5]
	s_or_b64 s[4:5], vcc, s[4:5]
	v_pk_mov_b32 v[4:5], v[10:11], v[10:11] op_sel:[0,1]
	s_andn2_b64 exec, exec, s[4:5]
	s_cbranch_execnz .LBB4_24
.LBB4_25:
	s_or_b64 exec, exec, s[10:11]
	s_waitcnt vmcnt(0) lgkmcnt(0)
	s_setpc_b64 s[30:31]
.Lfunc_end4:
	.size	__ockl_printf_begin, .Lfunc_end4-__ockl_printf_begin
                                        ; -- End function
	.section	.AMDGPU.csdata,"",@progbits
; Function info:
; codeLenInByte = 1284
; NumSgprs: 36
; NumVgprs: 16
; NumAgprs: 0
; TotalNumVgprs: 16
; ScratchSize: 0
; MemoryBound: 0
	.text
	.protected	_Z16showDeviceKernelPiS_S_S_S_S_S_S_S_ ; -- Begin function _Z16showDeviceKernelPiS_S_S_S_S_S_S_S_
	.globl	_Z16showDeviceKernelPiS_S_S_S_S_S_S_S_
	.p2align	8
	.type	_Z16showDeviceKernelPiS_S_S_S_S_S_S_S_,@function
_Z16showDeviceKernelPiS_S_S_S_S_S_S_S_: ; @_Z16showDeviceKernelPiS_S_S_S_S_S_S_S_
; %bb.0:
	s_load_dwordx2 s[34:35], s[4:5], 0x98
	s_add_u32 flat_scratch_lo, s6, s9
	v_mbcnt_lo_u32_b32 v0, -1, 0
	s_addc_u32 flat_scratch_hi, s7, 0
	v_mbcnt_hi_u32_b32 v51, -1, v0
	s_add_u32 s0, s0, s9
	s_mov_b64 s[26:27], s[4:5]
	v_readfirstlane_b32 s4, v51
	s_addc_u32 s1, s1, 0
	v_cmp_eq_u32_e64 s[4:5], s4, v51
	v_pk_mov_b32 v[6:7], 0, 0
	s_mov_b32 s32, 0
	s_and_saveexec_b64 s[6:7], s[4:5]
	s_cbranch_execz .LBB5_6
; %bb.1:
	v_mov_b32_e32 v0, 0
	s_waitcnt lgkmcnt(0)
	global_load_dwordx2 v[4:5], v0, s[34:35] offset:24 glc
	s_waitcnt vmcnt(0)
	buffer_invl2
	buffer_wbinvl1_vol
	global_load_dwordx2 v[2:3], v0, s[34:35] offset:40
	global_load_dwordx2 v[6:7], v0, s[34:35]
	s_waitcnt vmcnt(1)
	v_and_b32_e32 v1, v2, v4
	v_and_b32_e32 v2, v3, v5
	v_mul_lo_u32 v2, v2, 24
	v_mul_hi_u32 v3, v1, 24
	v_mul_lo_u32 v1, v1, 24
	v_add_u32_e32 v3, v3, v2
	s_waitcnt vmcnt(0)
	v_add_co_u32_e32 v2, vcc, v6, v1
	v_addc_co_u32_e32 v3, vcc, v7, v3, vcc
	global_load_dwordx2 v[2:3], v[2:3], off glc
	s_waitcnt vmcnt(0)
	global_atomic_cmpswap_x2 v[6:7], v0, v[2:5], s[34:35] offset:24 glc
	s_waitcnt vmcnt(0)
	buffer_invl2
	buffer_wbinvl1_vol
	v_cmp_ne_u64_e32 vcc, v[6:7], v[4:5]
	s_and_saveexec_b64 s[8:9], vcc
	s_cbranch_execz .LBB5_5
; %bb.2:
	s_mov_b64 s[10:11], 0
.LBB5_3:                                ; =>This Inner Loop Header: Depth=1
	s_sleep 1
	global_load_dwordx2 v[2:3], v0, s[34:35] offset:40
	global_load_dwordx2 v[8:9], v0, s[34:35]
	v_pk_mov_b32 v[4:5], v[6:7], v[6:7] op_sel:[0,1]
	s_waitcnt vmcnt(1)
	v_and_b32_e32 v2, v2, v4
	v_and_b32_e32 v1, v3, v5
	s_waitcnt vmcnt(0)
	v_mad_u64_u32 v[2:3], s[12:13], v2, 24, v[8:9]
	v_mov_b32_e32 v6, v3
	v_mad_u64_u32 v[6:7], s[12:13], v1, 24, v[6:7]
	v_mov_b32_e32 v3, v6
	global_load_dwordx2 v[2:3], v[2:3], off glc
	s_waitcnt vmcnt(0)
	global_atomic_cmpswap_x2 v[6:7], v0, v[2:5], s[34:35] offset:24 glc
	s_waitcnt vmcnt(0)
	buffer_invl2
	buffer_wbinvl1_vol
	v_cmp_eq_u64_e32 vcc, v[6:7], v[4:5]
	s_or_b64 s[10:11], vcc, s[10:11]
	s_andn2_b64 exec, exec, s[10:11]
	s_cbranch_execnz .LBB5_3
; %bb.4:
	s_or_b64 exec, exec, s[10:11]
.LBB5_5:
	s_or_b64 exec, exec, s[8:9]
.LBB5_6:
	s_or_b64 exec, exec, s[6:7]
	v_mov_b32_e32 v5, 0
	s_waitcnt lgkmcnt(0)
	global_load_dwordx2 v[8:9], v5, s[34:35] offset:40
	global_load_dwordx4 v[0:3], v5, s[34:35]
	v_readfirstlane_b32 s6, v6
	v_readfirstlane_b32 s7, v7
	s_mov_b64 s[8:9], exec
	s_waitcnt vmcnt(1)
	v_readfirstlane_b32 s10, v8
	v_readfirstlane_b32 s11, v9
	s_and_b64 s[10:11], s[6:7], s[10:11]
	s_mul_i32 s12, s11, 24
	s_mul_hi_u32 s13, s10, 24
	s_mul_i32 s14, s10, 24
	s_add_i32 s12, s13, s12
	v_mov_b32_e32 v4, s12
	s_waitcnt vmcnt(0)
	v_add_co_u32_e32 v8, vcc, s14, v0
	v_addc_co_u32_e32 v9, vcc, v1, v4, vcc
	s_and_saveexec_b64 s[12:13], s[4:5]
	s_cbranch_execz .LBB5_8
; %bb.7:
	v_pk_mov_b32 v[10:11], s[8:9], s[8:9] op_sel:[0,1]
	v_mov_b32_e32 v12, 2
	v_mov_b32_e32 v13, 1
	global_store_dwordx4 v[8:9], v[10:13], off offset:8
.LBB5_8:
	s_or_b64 exec, exec, s[12:13]
	s_lshl_b64 s[8:9], s[10:11], 12
	v_mov_b32_e32 v4, s9
	v_add_co_u32_e32 v2, vcc, s8, v2
	v_addc_co_u32_e32 v3, vcc, v3, v4, vcc
	s_mov_b32 s8, 0
	v_lshlrev_b32_e32 v50, 6, v51
	v_add_co_u32_e32 v10, vcc, v2, v50
	v_mov_b32_e32 v4, 33
	v_mov_b32_e32 v6, v5
	;; [unrolled: 1-line block ×3, first 2 shown]
	v_readfirstlane_b32 s12, v2
	v_readfirstlane_b32 s13, v3
	s_mov_b32 s9, s8
	v_addc_co_u32_e32 v11, vcc, 0, v3, vcc
	s_mov_b32 s10, s8
	s_mov_b32 s11, s8
	s_nop 0
	global_store_dwordx4 v50, v[4:7], s[12:13]
	v_pk_mov_b32 v[2:3], s[8:9], s[8:9] op_sel:[0,1]
	v_pk_mov_b32 v[4:5], s[10:11], s[10:11] op_sel:[0,1]
	global_store_dwordx4 v50, v[2:5], s[12:13] offset:16
	global_store_dwordx4 v50, v[2:5], s[12:13] offset:32
	;; [unrolled: 1-line block ×3, first 2 shown]
	s_and_saveexec_b64 s[8:9], s[4:5]
	s_cbranch_execz .LBB5_16
; %bb.9:
	v_mov_b32_e32 v6, 0
	global_load_dwordx2 v[14:15], v6, s[34:35] offset:32 glc
	global_load_dwordx2 v[2:3], v6, s[34:35] offset:40
	v_mov_b32_e32 v12, s6
	v_mov_b32_e32 v13, s7
	s_waitcnt vmcnt(0)
	v_and_b32_e32 v2, s6, v2
	v_and_b32_e32 v3, s7, v3
	v_mul_lo_u32 v3, v3, 24
	v_mul_hi_u32 v4, v2, 24
	v_mul_lo_u32 v2, v2, 24
	v_add_u32_e32 v3, v4, v3
	v_add_co_u32_e32 v4, vcc, v0, v2
	v_addc_co_u32_e32 v5, vcc, v1, v3, vcc
	global_store_dwordx2 v[4:5], v[14:15], off
	buffer_wbl2
	s_waitcnt vmcnt(0)
	global_atomic_cmpswap_x2 v[2:3], v6, v[12:15], s[34:35] offset:32 glc
	s_waitcnt vmcnt(0)
	v_cmp_ne_u64_e32 vcc, v[2:3], v[14:15]
	s_and_saveexec_b64 s[10:11], vcc
	s_cbranch_execz .LBB5_12
; %bb.10:
	s_mov_b64 s[12:13], 0
.LBB5_11:                               ; =>This Inner Loop Header: Depth=1
	s_sleep 1
	global_store_dwordx2 v[4:5], v[2:3], off
	v_mov_b32_e32 v0, s6
	v_mov_b32_e32 v1, s7
	buffer_wbl2
	s_waitcnt vmcnt(0)
	global_atomic_cmpswap_x2 v[0:1], v6, v[0:3], s[34:35] offset:32 glc
	s_waitcnt vmcnt(0)
	v_cmp_eq_u64_e32 vcc, v[0:1], v[2:3]
	s_or_b64 s[12:13], vcc, s[12:13]
	v_pk_mov_b32 v[2:3], v[0:1], v[0:1] op_sel:[0,1]
	s_andn2_b64 exec, exec, s[12:13]
	s_cbranch_execnz .LBB5_11
.LBB5_12:
	s_or_b64 exec, exec, s[10:11]
	v_mov_b32_e32 v3, 0
	global_load_dwordx2 v[0:1], v3, s[34:35] offset:16
	s_mov_b64 s[10:11], exec
	v_mbcnt_lo_u32_b32 v2, s10, 0
	v_mbcnt_hi_u32_b32 v2, s11, v2
	v_cmp_eq_u32_e32 vcc, 0, v2
	s_and_saveexec_b64 s[12:13], vcc
	s_cbranch_execz .LBB5_14
; %bb.13:
	s_bcnt1_i32_b64 s10, s[10:11]
	v_mov_b32_e32 v2, s10
	buffer_wbl2
	s_waitcnt vmcnt(0)
	global_atomic_add_x2 v[0:1], v[2:3], off offset:8
.LBB5_14:
	s_or_b64 exec, exec, s[12:13]
	s_waitcnt vmcnt(0)
	global_load_dwordx2 v[2:3], v[0:1], off offset:16
	s_waitcnt vmcnt(0)
	v_cmp_eq_u64_e32 vcc, 0, v[2:3]
	s_cbranch_vccnz .LBB5_16
; %bb.15:
	global_load_dword v0, v[0:1], off offset:24
	v_mov_b32_e32 v1, 0
	buffer_wbl2
	s_waitcnt vmcnt(0)
	global_store_dwordx2 v[2:3], v[0:1], off
	v_and_b32_e32 v0, 0xffffff, v0
	v_readfirstlane_b32 m0, v0
	s_sendmsg sendmsg(MSG_INTERRUPT)
.LBB5_16:
	s_or_b64 exec, exec, s[8:9]
	s_branch .LBB5_20
.LBB5_17:                               ;   in Loop: Header=BB5_20 Depth=1
	s_or_b64 exec, exec, s[8:9]
	v_readfirstlane_b32 s8, v0
	s_cmp_eq_u32 s8, 0
	s_cbranch_scc1 .LBB5_19
; %bb.18:                               ;   in Loop: Header=BB5_20 Depth=1
	s_sleep 1
	s_cbranch_execnz .LBB5_20
	s_branch .LBB5_22
.LBB5_19:
	s_branch .LBB5_22
.LBB5_20:                               ; =>This Inner Loop Header: Depth=1
	v_mov_b32_e32 v0, 1
	s_and_saveexec_b64 s[8:9], s[4:5]
	s_cbranch_execz .LBB5_17
; %bb.21:                               ;   in Loop: Header=BB5_20 Depth=1
	global_load_dword v0, v[8:9], off offset:20 glc
	s_waitcnt vmcnt(0)
	buffer_invl2
	buffer_wbinvl1_vol
	v_and_b32_e32 v0, 1, v0
	s_branch .LBB5_17
.LBB5_22:
	global_load_dwordx2 v[0:1], v[10:11], off
	s_and_saveexec_b64 s[8:9], s[4:5]
	s_cbranch_execz .LBB5_25
; %bb.23:
	v_mov_b32_e32 v8, 0
	global_load_dwordx2 v[6:7], v8, s[34:35] offset:40
	global_load_dwordx2 v[10:11], v8, s[34:35] offset:24 glc
	global_load_dwordx2 v[12:13], v8, s[34:35]
	v_mov_b32_e32 v3, s7
	s_mov_b64 s[4:5], 0
	s_waitcnt vmcnt(2)
	v_add_co_u32_e32 v5, vcc, 1, v6
	v_addc_co_u32_e32 v9, vcc, 0, v7, vcc
	v_add_co_u32_e32 v2, vcc, s6, v5
	v_addc_co_u32_e32 v3, vcc, v9, v3, vcc
	v_cmp_eq_u64_e32 vcc, 0, v[2:3]
	v_cndmask_b32_e32 v3, v3, v9, vcc
	v_cndmask_b32_e32 v2, v2, v5, vcc
	v_and_b32_e32 v5, v3, v7
	v_and_b32_e32 v6, v2, v6
	v_mul_lo_u32 v5, v5, 24
	v_mul_hi_u32 v7, v6, 24
	v_mul_lo_u32 v6, v6, 24
	v_add_u32_e32 v5, v7, v5
	s_waitcnt vmcnt(0)
	v_add_co_u32_e32 v6, vcc, v12, v6
	v_addc_co_u32_e32 v7, vcc, v13, v5, vcc
	v_mov_b32_e32 v4, v10
	global_store_dwordx2 v[6:7], v[10:11], off
	v_mov_b32_e32 v5, v11
	buffer_wbl2
	s_waitcnt vmcnt(0)
	global_atomic_cmpswap_x2 v[4:5], v8, v[2:5], s[34:35] offset:24 glc
	s_waitcnt vmcnt(0)
	v_cmp_ne_u64_e32 vcc, v[4:5], v[10:11]
	s_and_b64 exec, exec, vcc
	s_cbranch_execz .LBB5_25
.LBB5_24:                               ; =>This Inner Loop Header: Depth=1
	s_sleep 1
	global_store_dwordx2 v[6:7], v[4:5], off
	buffer_wbl2
	s_waitcnt vmcnt(0)
	global_atomic_cmpswap_x2 v[10:11], v8, v[2:5], s[34:35] offset:24 glc
	s_waitcnt vmcnt(0)
	v_cmp_eq_u64_e32 vcc, v[10:11], v[4:5]
	s_or_b64 s[4:5], vcc, s[4:5]
	v_pk_mov_b32 v[4:5], v[10:11], v[10:11] op_sel:[0,1]
	s_andn2_b64 exec, exec, s[4:5]
	s_cbranch_execnz .LBB5_24
.LBB5_25:
	s_or_b64 exec, exec, s[8:9]
	s_getpc_b64 s[6:7]
	s_add_u32 s6, s6, .str@rel32@lo+4
	s_addc_u32 s7, s7, .str@rel32@hi+12
	s_cmp_lg_u64 s[6:7], 0
	s_cbranch_scc0 .LBB5_110
; %bb.26:
	s_waitcnt vmcnt(0)
	v_and_b32_e32 v6, -3, v0
	v_mov_b32_e32 v7, v1
	s_mov_b64 s[8:9], 35
	v_mov_b32_e32 v27, 0
	v_mov_b32_e32 v4, 2
	;; [unrolled: 1-line block ×3, first 2 shown]
	s_branch .LBB5_28
.LBB5_27:                               ;   in Loop: Header=BB5_28 Depth=1
	s_or_b64 exec, exec, s[14:15]
	s_sub_u32 s8, s8, s10
	s_subb_u32 s9, s9, s11
	s_add_u32 s6, s6, s10
	s_addc_u32 s7, s7, s11
	s_cmp_lg_u64 s[8:9], 0
	s_cbranch_scc0 .LBB5_109
.LBB5_28:                               ; =>This Loop Header: Depth=1
                                        ;     Child Loop BB5_31 Depth 2
                                        ;     Child Loop BB5_38 Depth 2
	;; [unrolled: 1-line block ×11, first 2 shown]
	v_cmp_lt_u64_e64 s[4:5], s[8:9], 56
	s_and_b64 s[4:5], s[4:5], exec
	v_cmp_gt_u64_e64 s[4:5], s[8:9], 7
	s_cselect_b32 s11, s9, 0
	s_cselect_b32 s10, s8, 56
	s_and_b64 vcc, exec, s[4:5]
	s_cbranch_vccnz .LBB5_33
; %bb.29:                               ;   in Loop: Header=BB5_28 Depth=1
	s_mov_b64 s[4:5], 0
	s_cmp_eq_u64 s[8:9], 0
	s_waitcnt vmcnt(0)
	v_pk_mov_b32 v[8:9], 0, 0
	s_cbranch_scc1 .LBB5_32
; %bb.30:                               ;   in Loop: Header=BB5_28 Depth=1
	s_lshl_b64 s[12:13], s[10:11], 3
	s_mov_b64 s[14:15], 0
	v_pk_mov_b32 v[8:9], 0, 0
	s_mov_b64 s[16:17], s[6:7]
.LBB5_31:                               ;   Parent Loop BB5_28 Depth=1
                                        ; =>  This Inner Loop Header: Depth=2
	global_load_ubyte v2, v27, s[16:17]
	s_waitcnt vmcnt(0)
	v_and_b32_e32 v26, 0xffff, v2
	v_lshlrev_b64 v[2:3], s14, v[26:27]
	s_add_u32 s14, s14, 8
	s_addc_u32 s15, s15, 0
	s_add_u32 s16, s16, 1
	s_addc_u32 s17, s17, 0
	v_or_b32_e32 v8, v2, v8
	s_cmp_lg_u32 s12, s14
	v_or_b32_e32 v9, v3, v9
	s_cbranch_scc1 .LBB5_31
.LBB5_32:                               ;   in Loop: Header=BB5_28 Depth=1
	s_mov_b32 s16, 0
	s_andn2_b64 vcc, exec, s[4:5]
	s_mov_b64 s[4:5], s[6:7]
	s_cbranch_vccz .LBB5_34
	s_branch .LBB5_35
.LBB5_33:                               ;   in Loop: Header=BB5_28 Depth=1
                                        ; implicit-def: $sgpr16
	s_mov_b64 s[4:5], s[6:7]
.LBB5_34:                               ;   in Loop: Header=BB5_28 Depth=1
	global_load_dwordx2 v[8:9], v27, s[6:7]
	s_add_i32 s16, s10, -8
	s_add_u32 s4, s6, 8
	s_addc_u32 s5, s7, 0
.LBB5_35:                               ;   in Loop: Header=BB5_28 Depth=1
	s_cmp_gt_u32 s16, 7
	s_cbranch_scc1 .LBB5_39
; %bb.36:                               ;   in Loop: Header=BB5_28 Depth=1
	s_cmp_eq_u32 s16, 0
	s_cbranch_scc1 .LBB5_40
; %bb.37:                               ;   in Loop: Header=BB5_28 Depth=1
	s_mov_b64 s[12:13], 0
	v_pk_mov_b32 v[10:11], 0, 0
	s_mov_b64 s[14:15], 0
.LBB5_38:                               ;   Parent Loop BB5_28 Depth=1
                                        ; =>  This Inner Loop Header: Depth=2
	s_add_u32 s18, s4, s14
	s_addc_u32 s19, s5, s15
	global_load_ubyte v2, v27, s[18:19]
	s_add_u32 s14, s14, 1
	s_addc_u32 s15, s15, 0
	s_waitcnt vmcnt(0)
	v_and_b32_e32 v26, 0xffff, v2
	v_lshlrev_b64 v[2:3], s12, v[26:27]
	s_add_u32 s12, s12, 8
	s_addc_u32 s13, s13, 0
	v_or_b32_e32 v10, v2, v10
	s_cmp_lg_u32 s16, s14
	v_or_b32_e32 v11, v3, v11
	s_cbranch_scc1 .LBB5_38
	s_branch .LBB5_41
.LBB5_39:                               ;   in Loop: Header=BB5_28 Depth=1
                                        ; implicit-def: $vgpr10_vgpr11
                                        ; implicit-def: $sgpr17
	s_branch .LBB5_42
.LBB5_40:                               ;   in Loop: Header=BB5_28 Depth=1
	v_pk_mov_b32 v[10:11], 0, 0
.LBB5_41:                               ;   in Loop: Header=BB5_28 Depth=1
	s_mov_b32 s17, 0
	s_cbranch_execnz .LBB5_43
.LBB5_42:                               ;   in Loop: Header=BB5_28 Depth=1
	global_load_dwordx2 v[10:11], v27, s[4:5]
	s_add_i32 s17, s16, -8
	s_add_u32 s4, s4, 8
	s_addc_u32 s5, s5, 0
.LBB5_43:                               ;   in Loop: Header=BB5_28 Depth=1
	s_cmp_gt_u32 s17, 7
	s_cbranch_scc1 .LBB5_47
; %bb.44:                               ;   in Loop: Header=BB5_28 Depth=1
	s_cmp_eq_u32 s17, 0
	s_cbranch_scc1 .LBB5_48
; %bb.45:                               ;   in Loop: Header=BB5_28 Depth=1
	s_mov_b64 s[12:13], 0
	v_pk_mov_b32 v[12:13], 0, 0
	s_mov_b64 s[14:15], 0
.LBB5_46:                               ;   Parent Loop BB5_28 Depth=1
                                        ; =>  This Inner Loop Header: Depth=2
	s_add_u32 s18, s4, s14
	s_addc_u32 s19, s5, s15
	global_load_ubyte v2, v27, s[18:19]
	s_add_u32 s14, s14, 1
	s_addc_u32 s15, s15, 0
	s_waitcnt vmcnt(0)
	v_and_b32_e32 v26, 0xffff, v2
	v_lshlrev_b64 v[2:3], s12, v[26:27]
	s_add_u32 s12, s12, 8
	s_addc_u32 s13, s13, 0
	v_or_b32_e32 v12, v2, v12
	s_cmp_lg_u32 s17, s14
	v_or_b32_e32 v13, v3, v13
	s_cbranch_scc1 .LBB5_46
	s_branch .LBB5_49
.LBB5_47:                               ;   in Loop: Header=BB5_28 Depth=1
                                        ; implicit-def: $sgpr16
	s_branch .LBB5_50
.LBB5_48:                               ;   in Loop: Header=BB5_28 Depth=1
	v_pk_mov_b32 v[12:13], 0, 0
.LBB5_49:                               ;   in Loop: Header=BB5_28 Depth=1
	s_mov_b32 s16, 0
	s_cbranch_execnz .LBB5_51
.LBB5_50:                               ;   in Loop: Header=BB5_28 Depth=1
	global_load_dwordx2 v[12:13], v27, s[4:5]
	s_add_i32 s16, s17, -8
	s_add_u32 s4, s4, 8
	s_addc_u32 s5, s5, 0
.LBB5_51:                               ;   in Loop: Header=BB5_28 Depth=1
	s_cmp_gt_u32 s16, 7
	s_cbranch_scc1 .LBB5_55
; %bb.52:                               ;   in Loop: Header=BB5_28 Depth=1
	s_cmp_eq_u32 s16, 0
	s_cbranch_scc1 .LBB5_56
; %bb.53:                               ;   in Loop: Header=BB5_28 Depth=1
	s_mov_b64 s[12:13], 0
	v_pk_mov_b32 v[14:15], 0, 0
	s_mov_b64 s[14:15], 0
.LBB5_54:                               ;   Parent Loop BB5_28 Depth=1
                                        ; =>  This Inner Loop Header: Depth=2
	s_add_u32 s18, s4, s14
	s_addc_u32 s19, s5, s15
	global_load_ubyte v2, v27, s[18:19]
	s_add_u32 s14, s14, 1
	s_addc_u32 s15, s15, 0
	s_waitcnt vmcnt(0)
	v_and_b32_e32 v26, 0xffff, v2
	v_lshlrev_b64 v[2:3], s12, v[26:27]
	s_add_u32 s12, s12, 8
	s_addc_u32 s13, s13, 0
	v_or_b32_e32 v14, v2, v14
	s_cmp_lg_u32 s16, s14
	v_or_b32_e32 v15, v3, v15
	s_cbranch_scc1 .LBB5_54
	s_branch .LBB5_57
.LBB5_55:                               ;   in Loop: Header=BB5_28 Depth=1
                                        ; implicit-def: $vgpr14_vgpr15
                                        ; implicit-def: $sgpr17
	s_branch .LBB5_58
.LBB5_56:                               ;   in Loop: Header=BB5_28 Depth=1
	v_pk_mov_b32 v[14:15], 0, 0
.LBB5_57:                               ;   in Loop: Header=BB5_28 Depth=1
	s_mov_b32 s17, 0
	s_cbranch_execnz .LBB5_59
.LBB5_58:                               ;   in Loop: Header=BB5_28 Depth=1
	global_load_dwordx2 v[14:15], v27, s[4:5]
	s_add_i32 s17, s16, -8
	s_add_u32 s4, s4, 8
	s_addc_u32 s5, s5, 0
.LBB5_59:                               ;   in Loop: Header=BB5_28 Depth=1
	s_cmp_gt_u32 s17, 7
	s_cbranch_scc1 .LBB5_63
; %bb.60:                               ;   in Loop: Header=BB5_28 Depth=1
	s_cmp_eq_u32 s17, 0
	s_cbranch_scc1 .LBB5_64
; %bb.61:                               ;   in Loop: Header=BB5_28 Depth=1
	s_mov_b64 s[12:13], 0
	v_pk_mov_b32 v[16:17], 0, 0
	s_mov_b64 s[14:15], 0
.LBB5_62:                               ;   Parent Loop BB5_28 Depth=1
                                        ; =>  This Inner Loop Header: Depth=2
	s_add_u32 s18, s4, s14
	s_addc_u32 s19, s5, s15
	global_load_ubyte v2, v27, s[18:19]
	s_add_u32 s14, s14, 1
	s_addc_u32 s15, s15, 0
	s_waitcnt vmcnt(0)
	v_and_b32_e32 v26, 0xffff, v2
	v_lshlrev_b64 v[2:3], s12, v[26:27]
	s_add_u32 s12, s12, 8
	s_addc_u32 s13, s13, 0
	v_or_b32_e32 v16, v2, v16
	s_cmp_lg_u32 s17, s14
	v_or_b32_e32 v17, v3, v17
	s_cbranch_scc1 .LBB5_62
	s_branch .LBB5_65
.LBB5_63:                               ;   in Loop: Header=BB5_28 Depth=1
                                        ; implicit-def: $sgpr16
	s_branch .LBB5_66
.LBB5_64:                               ;   in Loop: Header=BB5_28 Depth=1
	v_pk_mov_b32 v[16:17], 0, 0
.LBB5_65:                               ;   in Loop: Header=BB5_28 Depth=1
	s_mov_b32 s16, 0
	s_cbranch_execnz .LBB5_67
.LBB5_66:                               ;   in Loop: Header=BB5_28 Depth=1
	global_load_dwordx2 v[16:17], v27, s[4:5]
	s_add_i32 s16, s17, -8
	s_add_u32 s4, s4, 8
	s_addc_u32 s5, s5, 0
.LBB5_67:                               ;   in Loop: Header=BB5_28 Depth=1
	s_cmp_gt_u32 s16, 7
	s_cbranch_scc1 .LBB5_71
; %bb.68:                               ;   in Loop: Header=BB5_28 Depth=1
	s_cmp_eq_u32 s16, 0
	s_cbranch_scc1 .LBB5_72
; %bb.69:                               ;   in Loop: Header=BB5_28 Depth=1
	s_mov_b64 s[12:13], 0
	v_pk_mov_b32 v[18:19], 0, 0
	s_mov_b64 s[14:15], 0
.LBB5_70:                               ;   Parent Loop BB5_28 Depth=1
                                        ; =>  This Inner Loop Header: Depth=2
	s_add_u32 s18, s4, s14
	s_addc_u32 s19, s5, s15
	global_load_ubyte v2, v27, s[18:19]
	s_add_u32 s14, s14, 1
	s_addc_u32 s15, s15, 0
	s_waitcnt vmcnt(0)
	v_and_b32_e32 v26, 0xffff, v2
	v_lshlrev_b64 v[2:3], s12, v[26:27]
	s_add_u32 s12, s12, 8
	s_addc_u32 s13, s13, 0
	v_or_b32_e32 v18, v2, v18
	s_cmp_lg_u32 s16, s14
	v_or_b32_e32 v19, v3, v19
	s_cbranch_scc1 .LBB5_70
	s_branch .LBB5_73
.LBB5_71:                               ;   in Loop: Header=BB5_28 Depth=1
                                        ; implicit-def: $vgpr18_vgpr19
                                        ; implicit-def: $sgpr17
	s_branch .LBB5_74
.LBB5_72:                               ;   in Loop: Header=BB5_28 Depth=1
	v_pk_mov_b32 v[18:19], 0, 0
.LBB5_73:                               ;   in Loop: Header=BB5_28 Depth=1
	s_mov_b32 s17, 0
	s_cbranch_execnz .LBB5_75
.LBB5_74:                               ;   in Loop: Header=BB5_28 Depth=1
	global_load_dwordx2 v[18:19], v27, s[4:5]
	s_add_i32 s17, s16, -8
	s_add_u32 s4, s4, 8
	s_addc_u32 s5, s5, 0
.LBB5_75:                               ;   in Loop: Header=BB5_28 Depth=1
	s_cmp_gt_u32 s17, 7
	s_cbranch_scc1 .LBB5_79
; %bb.76:                               ;   in Loop: Header=BB5_28 Depth=1
	s_cmp_eq_u32 s17, 0
	s_cbranch_scc1 .LBB5_80
; %bb.77:                               ;   in Loop: Header=BB5_28 Depth=1
	s_mov_b64 s[12:13], 0
	v_pk_mov_b32 v[20:21], 0, 0
	s_mov_b64 s[14:15], s[4:5]
.LBB5_78:                               ;   Parent Loop BB5_28 Depth=1
                                        ; =>  This Inner Loop Header: Depth=2
	global_load_ubyte v2, v27, s[14:15]
	s_add_i32 s17, s17, -1
	s_waitcnt vmcnt(0)
	v_and_b32_e32 v26, 0xffff, v2
	v_lshlrev_b64 v[2:3], s12, v[26:27]
	s_add_u32 s12, s12, 8
	s_addc_u32 s13, s13, 0
	s_add_u32 s14, s14, 1
	s_addc_u32 s15, s15, 0
	v_or_b32_e32 v20, v2, v20
	s_cmp_lg_u32 s17, 0
	v_or_b32_e32 v21, v3, v21
	s_cbranch_scc1 .LBB5_78
	s_branch .LBB5_81
.LBB5_79:                               ;   in Loop: Header=BB5_28 Depth=1
	s_branch .LBB5_82
.LBB5_80:                               ;   in Loop: Header=BB5_28 Depth=1
	v_pk_mov_b32 v[20:21], 0, 0
.LBB5_81:                               ;   in Loop: Header=BB5_28 Depth=1
	s_cbranch_execnz .LBB5_83
.LBB5_82:                               ;   in Loop: Header=BB5_28 Depth=1
	global_load_dwordx2 v[20:21], v27, s[4:5]
.LBB5_83:                               ;   in Loop: Header=BB5_28 Depth=1
	v_readfirstlane_b32 s4, v51
	v_cmp_eq_u32_e64 s[4:5], s4, v51
	v_pk_mov_b32 v[2:3], 0, 0
	s_and_saveexec_b64 s[12:13], s[4:5]
	s_cbranch_execz .LBB5_89
; %bb.84:                               ;   in Loop: Header=BB5_28 Depth=1
	global_load_dwordx2 v[24:25], v27, s[34:35] offset:24 glc
	s_waitcnt vmcnt(0)
	buffer_invl2
	buffer_wbinvl1_vol
	global_load_dwordx2 v[2:3], v27, s[34:35] offset:40
	global_load_dwordx2 v[22:23], v27, s[34:35]
	s_waitcnt vmcnt(1)
	v_and_b32_e32 v2, v2, v24
	v_and_b32_e32 v3, v3, v25
	v_mul_lo_u32 v3, v3, 24
	v_mul_hi_u32 v26, v2, 24
	v_mul_lo_u32 v2, v2, 24
	v_add_u32_e32 v3, v26, v3
	s_waitcnt vmcnt(0)
	v_add_co_u32_e32 v2, vcc, v22, v2
	v_addc_co_u32_e32 v3, vcc, v23, v3, vcc
	global_load_dwordx2 v[22:23], v[2:3], off glc
	s_waitcnt vmcnt(0)
	global_atomic_cmpswap_x2 v[2:3], v27, v[22:25], s[34:35] offset:24 glc
	s_waitcnt vmcnt(0)
	buffer_invl2
	buffer_wbinvl1_vol
	v_cmp_ne_u64_e32 vcc, v[2:3], v[24:25]
	s_and_saveexec_b64 s[14:15], vcc
	s_cbranch_execz .LBB5_88
; %bb.85:                               ;   in Loop: Header=BB5_28 Depth=1
	s_mov_b64 s[16:17], 0
.LBB5_86:                               ;   Parent Loop BB5_28 Depth=1
                                        ; =>  This Inner Loop Header: Depth=2
	s_sleep 1
	global_load_dwordx2 v[22:23], v27, s[34:35] offset:40
	global_load_dwordx2 v[28:29], v27, s[34:35]
	v_pk_mov_b32 v[24:25], v[2:3], v[2:3] op_sel:[0,1]
	s_waitcnt vmcnt(1)
	v_and_b32_e32 v2, v22, v24
	s_waitcnt vmcnt(0)
	v_mad_u64_u32 v[2:3], s[18:19], v2, 24, v[28:29]
	v_and_b32_e32 v23, v23, v25
	v_mov_b32_e32 v22, v3
	v_mad_u64_u32 v[22:23], s[18:19], v23, 24, v[22:23]
	v_mov_b32_e32 v3, v22
	global_load_dwordx2 v[22:23], v[2:3], off glc
	s_waitcnt vmcnt(0)
	global_atomic_cmpswap_x2 v[2:3], v27, v[22:25], s[34:35] offset:24 glc
	s_waitcnt vmcnt(0)
	buffer_invl2
	buffer_wbinvl1_vol
	v_cmp_eq_u64_e32 vcc, v[2:3], v[24:25]
	s_or_b64 s[16:17], vcc, s[16:17]
	s_andn2_b64 exec, exec, s[16:17]
	s_cbranch_execnz .LBB5_86
; %bb.87:                               ;   in Loop: Header=BB5_28 Depth=1
	s_or_b64 exec, exec, s[16:17]
.LBB5_88:                               ;   in Loop: Header=BB5_28 Depth=1
	s_or_b64 exec, exec, s[14:15]
.LBB5_89:                               ;   in Loop: Header=BB5_28 Depth=1
	s_or_b64 exec, exec, s[12:13]
	global_load_dwordx2 v[28:29], v27, s[34:35] offset:40
	global_load_dwordx4 v[22:25], v27, s[34:35]
	v_readfirstlane_b32 s12, v2
	v_readfirstlane_b32 s13, v3
	s_mov_b64 s[14:15], exec
	s_waitcnt vmcnt(1)
	v_readfirstlane_b32 s16, v28
	v_readfirstlane_b32 s17, v29
	s_and_b64 s[16:17], s[12:13], s[16:17]
	s_mul_i32 s18, s17, 24
	s_mul_hi_u32 s19, s16, 24
	s_mul_i32 s20, s16, 24
	s_add_i32 s18, s19, s18
	v_mov_b32_e32 v2, s18
	s_waitcnt vmcnt(0)
	v_add_co_u32_e32 v28, vcc, s20, v22
	v_addc_co_u32_e32 v29, vcc, v23, v2, vcc
	s_and_saveexec_b64 s[18:19], s[4:5]
	s_cbranch_execz .LBB5_91
; %bb.90:                               ;   in Loop: Header=BB5_28 Depth=1
	v_pk_mov_b32 v[2:3], s[14:15], s[14:15] op_sel:[0,1]
	global_store_dwordx4 v[28:29], v[2:5], off offset:8
.LBB5_91:                               ;   in Loop: Header=BB5_28 Depth=1
	s_or_b64 exec, exec, s[18:19]
	s_lshl_b64 s[14:15], s[16:17], 12
	v_mov_b32_e32 v3, s15
	v_add_co_u32_e32 v2, vcc, s14, v24
	v_addc_co_u32_e32 v3, vcc, v25, v3, vcc
	v_or_b32_e32 v24, 2, v6
	v_cmp_gt_u64_e64 vcc, s[8:9], 56
	s_lshl_b32 s14, s10, 2
	v_cndmask_b32_e32 v6, v24, v6, vcc
	s_add_i32 s14, s14, 28
	s_and_b32 s14, s14, 0x1e0
	v_and_b32_e32 v6, 0xffffff1f, v6
	v_or_b32_e32 v6, s14, v6
	v_readfirstlane_b32 s14, v2
	v_readfirstlane_b32 s15, v3
	s_nop 4
	global_store_dwordx4 v50, v[6:9], s[14:15]
	global_store_dwordx4 v50, v[10:13], s[14:15] offset:16
	global_store_dwordx4 v50, v[14:17], s[14:15] offset:32
	;; [unrolled: 1-line block ×3, first 2 shown]
	s_and_saveexec_b64 s[14:15], s[4:5]
	s_cbranch_execz .LBB5_99
; %bb.92:                               ;   in Loop: Header=BB5_28 Depth=1
	global_load_dwordx2 v[14:15], v27, s[34:35] offset:32 glc
	global_load_dwordx2 v[6:7], v27, s[34:35] offset:40
	v_mov_b32_e32 v12, s12
	v_mov_b32_e32 v13, s13
	s_waitcnt vmcnt(0)
	v_readfirstlane_b32 s16, v6
	v_readfirstlane_b32 s17, v7
	s_and_b64 s[16:17], s[16:17], s[12:13]
	s_mul_i32 s17, s17, 24
	s_mul_hi_u32 s18, s16, 24
	s_mul_i32 s16, s16, 24
	s_add_i32 s17, s18, s17
	v_mov_b32_e32 v6, s17
	v_add_co_u32_e32 v10, vcc, s16, v22
	v_addc_co_u32_e32 v11, vcc, v23, v6, vcc
	global_store_dwordx2 v[10:11], v[14:15], off
	buffer_wbl2
	s_waitcnt vmcnt(0)
	global_atomic_cmpswap_x2 v[8:9], v27, v[12:15], s[34:35] offset:32 glc
	s_waitcnt vmcnt(0)
	v_cmp_ne_u64_e32 vcc, v[8:9], v[14:15]
	s_and_saveexec_b64 s[16:17], vcc
	s_cbranch_execz .LBB5_95
; %bb.93:                               ;   in Loop: Header=BB5_28 Depth=1
	s_mov_b64 s[18:19], 0
.LBB5_94:                               ;   Parent Loop BB5_28 Depth=1
                                        ; =>  This Inner Loop Header: Depth=2
	s_sleep 1
	global_store_dwordx2 v[10:11], v[8:9], off
	v_mov_b32_e32 v6, s12
	v_mov_b32_e32 v7, s13
	buffer_wbl2
	s_waitcnt vmcnt(0)
	global_atomic_cmpswap_x2 v[6:7], v27, v[6:9], s[34:35] offset:32 glc
	s_waitcnt vmcnt(0)
	v_cmp_eq_u64_e32 vcc, v[6:7], v[8:9]
	s_or_b64 s[18:19], vcc, s[18:19]
	v_pk_mov_b32 v[8:9], v[6:7], v[6:7] op_sel:[0,1]
	s_andn2_b64 exec, exec, s[18:19]
	s_cbranch_execnz .LBB5_94
.LBB5_95:                               ;   in Loop: Header=BB5_28 Depth=1
	s_or_b64 exec, exec, s[16:17]
	global_load_dwordx2 v[6:7], v27, s[34:35] offset:16
	s_mov_b64 s[18:19], exec
	v_mbcnt_lo_u32_b32 v8, s18, 0
	v_mbcnt_hi_u32_b32 v8, s19, v8
	v_cmp_eq_u32_e32 vcc, 0, v8
	s_and_saveexec_b64 s[16:17], vcc
	s_cbranch_execz .LBB5_97
; %bb.96:                               ;   in Loop: Header=BB5_28 Depth=1
	s_bcnt1_i32_b64 s18, s[18:19]
	v_mov_b32_e32 v26, s18
	buffer_wbl2
	s_waitcnt vmcnt(0)
	global_atomic_add_x2 v[6:7], v[26:27], off offset:8
.LBB5_97:                               ;   in Loop: Header=BB5_28 Depth=1
	s_or_b64 exec, exec, s[16:17]
	s_waitcnt vmcnt(0)
	global_load_dwordx2 v[8:9], v[6:7], off offset:16
	s_waitcnt vmcnt(0)
	v_cmp_eq_u64_e32 vcc, 0, v[8:9]
	s_cbranch_vccnz .LBB5_99
; %bb.98:                               ;   in Loop: Header=BB5_28 Depth=1
	global_load_dword v26, v[6:7], off offset:24
	s_waitcnt vmcnt(0)
	v_and_b32_e32 v6, 0xffffff, v26
	v_readfirstlane_b32 m0, v6
	buffer_wbl2
	global_store_dwordx2 v[8:9], v[26:27], off
	s_sendmsg sendmsg(MSG_INTERRUPT)
.LBB5_99:                               ;   in Loop: Header=BB5_28 Depth=1
	s_or_b64 exec, exec, s[14:15]
	v_add_co_u32_e32 v2, vcc, v2, v50
	v_addc_co_u32_e32 v3, vcc, 0, v3, vcc
	s_branch .LBB5_103
.LBB5_100:                              ;   in Loop: Header=BB5_103 Depth=2
	s_or_b64 exec, exec, s[14:15]
	v_readfirstlane_b32 s14, v6
	s_cmp_eq_u32 s14, 0
	s_cbranch_scc1 .LBB5_102
; %bb.101:                              ;   in Loop: Header=BB5_103 Depth=2
	s_sleep 1
	s_cbranch_execnz .LBB5_103
	s_branch .LBB5_105
.LBB5_102:                              ;   in Loop: Header=BB5_28 Depth=1
	s_branch .LBB5_105
.LBB5_103:                              ;   Parent Loop BB5_28 Depth=1
                                        ; =>  This Inner Loop Header: Depth=2
	v_mov_b32_e32 v6, 1
	s_and_saveexec_b64 s[14:15], s[4:5]
	s_cbranch_execz .LBB5_100
; %bb.104:                              ;   in Loop: Header=BB5_103 Depth=2
	global_load_dword v6, v[28:29], off offset:20 glc
	s_waitcnt vmcnt(0)
	buffer_invl2
	buffer_wbinvl1_vol
	v_and_b32_e32 v6, 1, v6
	s_branch .LBB5_100
.LBB5_105:                              ;   in Loop: Header=BB5_28 Depth=1
	global_load_dwordx4 v[6:9], v[2:3], off
	s_and_saveexec_b64 s[14:15], s[4:5]
	s_cbranch_execz .LBB5_27
; %bb.106:                              ;   in Loop: Header=BB5_28 Depth=1
	global_load_dwordx2 v[2:3], v27, s[34:35] offset:40
	global_load_dwordx2 v[12:13], v27, s[34:35] offset:24 glc
	global_load_dwordx2 v[14:15], v27, s[34:35]
	s_waitcnt vmcnt(3)
	v_mov_b32_e32 v9, s13
	s_waitcnt vmcnt(2)
	v_add_co_u32_e32 v11, vcc, 1, v2
	v_addc_co_u32_e32 v16, vcc, 0, v3, vcc
	v_add_co_u32_e32 v8, vcc, s12, v11
	v_addc_co_u32_e32 v9, vcc, v16, v9, vcc
	v_cmp_eq_u64_e32 vcc, 0, v[8:9]
	v_cndmask_b32_e32 v9, v9, v16, vcc
	v_cndmask_b32_e32 v8, v8, v11, vcc
	v_and_b32_e32 v3, v9, v3
	v_and_b32_e32 v2, v8, v2
	v_mul_lo_u32 v3, v3, 24
	v_mul_hi_u32 v11, v2, 24
	v_mul_lo_u32 v2, v2, 24
	v_add_u32_e32 v3, v11, v3
	s_waitcnt vmcnt(0)
	v_add_co_u32_e32 v2, vcc, v14, v2
	v_addc_co_u32_e32 v3, vcc, v15, v3, vcc
	v_mov_b32_e32 v10, v12
	global_store_dwordx2 v[2:3], v[12:13], off
	v_mov_b32_e32 v11, v13
	buffer_wbl2
	s_waitcnt vmcnt(0)
	global_atomic_cmpswap_x2 v[10:11], v27, v[8:11], s[34:35] offset:24 glc
	s_waitcnt vmcnt(0)
	v_cmp_ne_u64_e32 vcc, v[10:11], v[12:13]
	s_and_b64 exec, exec, vcc
	s_cbranch_execz .LBB5_27
; %bb.107:                              ;   in Loop: Header=BB5_28 Depth=1
	s_mov_b64 s[4:5], 0
.LBB5_108:                              ;   Parent Loop BB5_28 Depth=1
                                        ; =>  This Inner Loop Header: Depth=2
	s_sleep 1
	global_store_dwordx2 v[2:3], v[10:11], off
	buffer_wbl2
	s_waitcnt vmcnt(0)
	global_atomic_cmpswap_x2 v[12:13], v27, v[8:11], s[34:35] offset:24 glc
	s_waitcnt vmcnt(0)
	v_cmp_eq_u64_e32 vcc, v[12:13], v[10:11]
	s_or_b64 s[4:5], vcc, s[4:5]
	v_pk_mov_b32 v[10:11], v[12:13], v[12:13] op_sel:[0,1]
	s_andn2_b64 exec, exec, s[4:5]
	s_cbranch_execnz .LBB5_108
	s_branch .LBB5_27
.LBB5_109:
	s_branch .LBB5_137
.LBB5_110:
	s_cbranch_execz .LBB5_137
; %bb.111:
	v_readfirstlane_b32 s4, v51
	v_cmp_eq_u32_e64 s[4:5], s4, v51
	s_waitcnt vmcnt(0)
	v_pk_mov_b32 v[8:9], 0, 0
	s_and_saveexec_b64 s[6:7], s[4:5]
	s_cbranch_execz .LBB5_117
; %bb.112:
	v_mov_b32_e32 v2, 0
	global_load_dwordx2 v[6:7], v2, s[34:35] offset:24 glc
	s_waitcnt vmcnt(0)
	buffer_invl2
	buffer_wbinvl1_vol
	global_load_dwordx2 v[4:5], v2, s[34:35] offset:40
	global_load_dwordx2 v[8:9], v2, s[34:35]
	s_waitcnt vmcnt(1)
	v_and_b32_e32 v3, v4, v6
	v_and_b32_e32 v4, v5, v7
	v_mul_lo_u32 v4, v4, 24
	v_mul_hi_u32 v5, v3, 24
	v_mul_lo_u32 v3, v3, 24
	v_add_u32_e32 v5, v5, v4
	s_waitcnt vmcnt(0)
	v_add_co_u32_e32 v4, vcc, v8, v3
	v_addc_co_u32_e32 v5, vcc, v9, v5, vcc
	global_load_dwordx2 v[4:5], v[4:5], off glc
	s_waitcnt vmcnt(0)
	global_atomic_cmpswap_x2 v[8:9], v2, v[4:7], s[34:35] offset:24 glc
	s_waitcnt vmcnt(0)
	buffer_invl2
	buffer_wbinvl1_vol
	v_cmp_ne_u64_e32 vcc, v[8:9], v[6:7]
	s_and_saveexec_b64 s[8:9], vcc
	s_cbranch_execz .LBB5_116
; %bb.113:
	s_mov_b64 s[10:11], 0
.LBB5_114:                              ; =>This Inner Loop Header: Depth=1
	s_sleep 1
	global_load_dwordx2 v[4:5], v2, s[34:35] offset:40
	global_load_dwordx2 v[10:11], v2, s[34:35]
	v_pk_mov_b32 v[6:7], v[8:9], v[8:9] op_sel:[0,1]
	s_waitcnt vmcnt(1)
	v_and_b32_e32 v4, v4, v6
	v_and_b32_e32 v3, v5, v7
	s_waitcnt vmcnt(0)
	v_mad_u64_u32 v[4:5], s[12:13], v4, 24, v[10:11]
	v_mov_b32_e32 v8, v5
	v_mad_u64_u32 v[8:9], s[12:13], v3, 24, v[8:9]
	v_mov_b32_e32 v5, v8
	global_load_dwordx2 v[4:5], v[4:5], off glc
	s_waitcnt vmcnt(0)
	global_atomic_cmpswap_x2 v[8:9], v2, v[4:7], s[34:35] offset:24 glc
	s_waitcnt vmcnt(0)
	buffer_invl2
	buffer_wbinvl1_vol
	v_cmp_eq_u64_e32 vcc, v[8:9], v[6:7]
	s_or_b64 s[10:11], vcc, s[10:11]
	s_andn2_b64 exec, exec, s[10:11]
	s_cbranch_execnz .LBB5_114
; %bb.115:
	s_or_b64 exec, exec, s[10:11]
.LBB5_116:
	s_or_b64 exec, exec, s[8:9]
.LBB5_117:
	s_or_b64 exec, exec, s[6:7]
	v_mov_b32_e32 v2, 0
	global_load_dwordx2 v[10:11], v2, s[34:35] offset:40
	global_load_dwordx4 v[4:7], v2, s[34:35]
	v_readfirstlane_b32 s6, v8
	v_readfirstlane_b32 s7, v9
	s_mov_b64 s[8:9], exec
	s_waitcnt vmcnt(1)
	v_readfirstlane_b32 s10, v10
	v_readfirstlane_b32 s11, v11
	s_and_b64 s[10:11], s[6:7], s[10:11]
	s_mul_i32 s12, s11, 24
	s_mul_hi_u32 s13, s10, 24
	s_mul_i32 s14, s10, 24
	s_add_i32 s12, s13, s12
	v_mov_b32_e32 v3, s12
	s_waitcnt vmcnt(0)
	v_add_co_u32_e32 v8, vcc, s14, v4
	v_addc_co_u32_e32 v9, vcc, v5, v3, vcc
	s_and_saveexec_b64 s[12:13], s[4:5]
	s_cbranch_execz .LBB5_119
; %bb.118:
	v_pk_mov_b32 v[10:11], s[8:9], s[8:9] op_sel:[0,1]
	v_mov_b32_e32 v12, 2
	v_mov_b32_e32 v13, 1
	global_store_dwordx4 v[8:9], v[10:13], off offset:8
.LBB5_119:
	s_or_b64 exec, exec, s[12:13]
	s_lshl_b64 s[8:9], s[10:11], 12
	v_mov_b32_e32 v3, s9
	v_add_co_u32_e32 v6, vcc, s8, v6
	s_movk_i32 s8, 0xff1d
	v_addc_co_u32_e32 v7, vcc, v7, v3, vcc
	v_and_or_b32 v0, v0, s8, 34
	s_mov_b32 s8, 0
	v_mov_b32_e32 v3, v2
	v_readfirstlane_b32 s12, v6
	v_readfirstlane_b32 s13, v7
	s_mov_b32 s9, s8
	s_mov_b32 s10, s8
	;; [unrolled: 1-line block ×3, first 2 shown]
	s_nop 1
	global_store_dwordx4 v50, v[0:3], s[12:13]
	s_nop 0
	v_pk_mov_b32 v[0:1], s[8:9], s[8:9] op_sel:[0,1]
	v_pk_mov_b32 v[2:3], s[10:11], s[10:11] op_sel:[0,1]
	global_store_dwordx4 v50, v[0:3], s[12:13] offset:16
	global_store_dwordx4 v50, v[0:3], s[12:13] offset:32
	;; [unrolled: 1-line block ×3, first 2 shown]
	s_and_saveexec_b64 s[8:9], s[4:5]
	s_cbranch_execz .LBB5_127
; %bb.120:
	v_mov_b32_e32 v6, 0
	global_load_dwordx2 v[12:13], v6, s[34:35] offset:32 glc
	global_load_dwordx2 v[0:1], v6, s[34:35] offset:40
	v_mov_b32_e32 v10, s6
	v_mov_b32_e32 v11, s7
	s_waitcnt vmcnt(0)
	v_readfirstlane_b32 s10, v0
	v_readfirstlane_b32 s11, v1
	s_and_b64 s[10:11], s[10:11], s[6:7]
	s_mul_i32 s11, s11, 24
	s_mul_hi_u32 s12, s10, 24
	s_mul_i32 s10, s10, 24
	s_add_i32 s11, s12, s11
	v_mov_b32_e32 v0, s11
	v_add_co_u32_e32 v4, vcc, s10, v4
	v_addc_co_u32_e32 v5, vcc, v5, v0, vcc
	global_store_dwordx2 v[4:5], v[12:13], off
	buffer_wbl2
	s_waitcnt vmcnt(0)
	global_atomic_cmpswap_x2 v[2:3], v6, v[10:13], s[34:35] offset:32 glc
	s_waitcnt vmcnt(0)
	v_cmp_ne_u64_e32 vcc, v[2:3], v[12:13]
	s_and_saveexec_b64 s[10:11], vcc
	s_cbranch_execz .LBB5_123
; %bb.121:
	s_mov_b64 s[12:13], 0
.LBB5_122:                              ; =>This Inner Loop Header: Depth=1
	s_sleep 1
	global_store_dwordx2 v[4:5], v[2:3], off
	v_mov_b32_e32 v0, s6
	v_mov_b32_e32 v1, s7
	buffer_wbl2
	s_waitcnt vmcnt(0)
	global_atomic_cmpswap_x2 v[0:1], v6, v[0:3], s[34:35] offset:32 glc
	s_waitcnt vmcnt(0)
	v_cmp_eq_u64_e32 vcc, v[0:1], v[2:3]
	s_or_b64 s[12:13], vcc, s[12:13]
	v_pk_mov_b32 v[2:3], v[0:1], v[0:1] op_sel:[0,1]
	s_andn2_b64 exec, exec, s[12:13]
	s_cbranch_execnz .LBB5_122
.LBB5_123:
	s_or_b64 exec, exec, s[10:11]
	v_mov_b32_e32 v3, 0
	global_load_dwordx2 v[0:1], v3, s[34:35] offset:16
	s_mov_b64 s[10:11], exec
	v_mbcnt_lo_u32_b32 v2, s10, 0
	v_mbcnt_hi_u32_b32 v2, s11, v2
	v_cmp_eq_u32_e32 vcc, 0, v2
	s_and_saveexec_b64 s[12:13], vcc
	s_cbranch_execz .LBB5_125
; %bb.124:
	s_bcnt1_i32_b64 s10, s[10:11]
	v_mov_b32_e32 v2, s10
	buffer_wbl2
	s_waitcnt vmcnt(0)
	global_atomic_add_x2 v[0:1], v[2:3], off offset:8
.LBB5_125:
	s_or_b64 exec, exec, s[12:13]
	s_waitcnt vmcnt(0)
	global_load_dwordx2 v[2:3], v[0:1], off offset:16
	s_waitcnt vmcnt(0)
	v_cmp_eq_u64_e32 vcc, 0, v[2:3]
	s_cbranch_vccnz .LBB5_127
; %bb.126:
	global_load_dword v0, v[0:1], off offset:24
	v_mov_b32_e32 v1, 0
	buffer_wbl2
	s_waitcnt vmcnt(0)
	global_store_dwordx2 v[2:3], v[0:1], off
	v_and_b32_e32 v0, 0xffffff, v0
	v_readfirstlane_b32 m0, v0
	s_sendmsg sendmsg(MSG_INTERRUPT)
.LBB5_127:
	s_or_b64 exec, exec, s[8:9]
	s_branch .LBB5_131
.LBB5_128:                              ;   in Loop: Header=BB5_131 Depth=1
	s_or_b64 exec, exec, s[8:9]
	v_readfirstlane_b32 s8, v0
	s_cmp_eq_u32 s8, 0
	s_cbranch_scc1 .LBB5_130
; %bb.129:                              ;   in Loop: Header=BB5_131 Depth=1
	s_sleep 1
	s_cbranch_execnz .LBB5_131
	s_branch .LBB5_133
.LBB5_130:
	s_branch .LBB5_133
.LBB5_131:                              ; =>This Inner Loop Header: Depth=1
	v_mov_b32_e32 v0, 1
	s_and_saveexec_b64 s[8:9], s[4:5]
	s_cbranch_execz .LBB5_128
; %bb.132:                              ;   in Loop: Header=BB5_131 Depth=1
	global_load_dword v0, v[8:9], off offset:20 glc
	s_waitcnt vmcnt(0)
	buffer_invl2
	buffer_wbinvl1_vol
	v_and_b32_e32 v0, 1, v0
	s_branch .LBB5_128
.LBB5_133:
	s_and_saveexec_b64 s[8:9], s[4:5]
	s_cbranch_execz .LBB5_136
; %bb.134:
	v_mov_b32_e32 v6, 0
	global_load_dwordx2 v[4:5], v6, s[34:35] offset:40
	global_load_dwordx2 v[8:9], v6, s[34:35] offset:24 glc
	global_load_dwordx2 v[10:11], v6, s[34:35]
	v_mov_b32_e32 v1, s7
	s_mov_b64 s[4:5], 0
	s_waitcnt vmcnt(2)
	v_add_co_u32_e32 v3, vcc, 1, v4
	v_addc_co_u32_e32 v7, vcc, 0, v5, vcc
	v_add_co_u32_e32 v0, vcc, s6, v3
	v_addc_co_u32_e32 v1, vcc, v7, v1, vcc
	v_cmp_eq_u64_e32 vcc, 0, v[0:1]
	v_cndmask_b32_e32 v1, v1, v7, vcc
	v_cndmask_b32_e32 v0, v0, v3, vcc
	v_and_b32_e32 v3, v1, v5
	v_and_b32_e32 v4, v0, v4
	v_mul_lo_u32 v3, v3, 24
	v_mul_hi_u32 v5, v4, 24
	v_mul_lo_u32 v4, v4, 24
	v_add_u32_e32 v3, v5, v3
	s_waitcnt vmcnt(0)
	v_add_co_u32_e32 v4, vcc, v10, v4
	v_addc_co_u32_e32 v5, vcc, v11, v3, vcc
	v_mov_b32_e32 v2, v8
	global_store_dwordx2 v[4:5], v[8:9], off
	v_mov_b32_e32 v3, v9
	buffer_wbl2
	s_waitcnt vmcnt(0)
	global_atomic_cmpswap_x2 v[2:3], v6, v[0:3], s[34:35] offset:24 glc
	s_waitcnt vmcnt(0)
	v_cmp_ne_u64_e32 vcc, v[2:3], v[8:9]
	s_and_b64 exec, exec, vcc
	s_cbranch_execz .LBB5_136
.LBB5_135:                              ; =>This Inner Loop Header: Depth=1
	s_sleep 1
	global_store_dwordx2 v[4:5], v[2:3], off
	buffer_wbl2
	s_waitcnt vmcnt(0)
	global_atomic_cmpswap_x2 v[8:9], v6, v[0:3], s[34:35] offset:24 glc
	s_waitcnt vmcnt(0)
	v_cmp_eq_u64_e32 vcc, v[8:9], v[2:3]
	s_or_b64 s[4:5], vcc, s[4:5]
	v_pk_mov_b32 v[2:3], v[8:9], v[8:9] op_sel:[0,1]
	s_andn2_b64 exec, exec, s[4:5]
	s_cbranch_execnz .LBB5_135
.LBB5_136:
	s_or_b64 exec, exec, s[8:9]
.LBB5_137:
	v_readfirstlane_b32 s4, v51
	v_cmp_eq_u32_e64 s[4:5], s4, v51
	s_waitcnt vmcnt(0)
	v_pk_mov_b32 v[6:7], 0, 0
	s_and_saveexec_b64 s[6:7], s[4:5]
	s_cbranch_execz .LBB5_143
; %bb.138:
	v_mov_b32_e32 v0, 0
	global_load_dwordx2 v[4:5], v0, s[34:35] offset:24 glc
	s_waitcnt vmcnt(0)
	buffer_invl2
	buffer_wbinvl1_vol
	global_load_dwordx2 v[2:3], v0, s[34:35] offset:40
	global_load_dwordx2 v[6:7], v0, s[34:35]
	s_waitcnt vmcnt(1)
	v_and_b32_e32 v1, v2, v4
	v_and_b32_e32 v2, v3, v5
	v_mul_lo_u32 v2, v2, 24
	v_mul_hi_u32 v3, v1, 24
	v_mul_lo_u32 v1, v1, 24
	v_add_u32_e32 v3, v3, v2
	s_waitcnt vmcnt(0)
	v_add_co_u32_e32 v2, vcc, v6, v1
	v_addc_co_u32_e32 v3, vcc, v7, v3, vcc
	global_load_dwordx2 v[2:3], v[2:3], off glc
	s_waitcnt vmcnt(0)
	global_atomic_cmpswap_x2 v[6:7], v0, v[2:5], s[34:35] offset:24 glc
	s_waitcnt vmcnt(0)
	buffer_invl2
	buffer_wbinvl1_vol
	v_cmp_ne_u64_e32 vcc, v[6:7], v[4:5]
	s_and_saveexec_b64 s[8:9], vcc
	s_cbranch_execz .LBB5_142
; %bb.139:
	s_mov_b64 s[10:11], 0
.LBB5_140:                              ; =>This Inner Loop Header: Depth=1
	s_sleep 1
	global_load_dwordx2 v[2:3], v0, s[34:35] offset:40
	global_load_dwordx2 v[8:9], v0, s[34:35]
	v_pk_mov_b32 v[4:5], v[6:7], v[6:7] op_sel:[0,1]
	s_waitcnt vmcnt(1)
	v_and_b32_e32 v2, v2, v4
	v_and_b32_e32 v1, v3, v5
	s_waitcnt vmcnt(0)
	v_mad_u64_u32 v[2:3], s[12:13], v2, 24, v[8:9]
	v_mov_b32_e32 v6, v3
	v_mad_u64_u32 v[6:7], s[12:13], v1, 24, v[6:7]
	v_mov_b32_e32 v3, v6
	global_load_dwordx2 v[2:3], v[2:3], off glc
	s_waitcnt vmcnt(0)
	global_atomic_cmpswap_x2 v[6:7], v0, v[2:5], s[34:35] offset:24 glc
	s_waitcnt vmcnt(0)
	buffer_invl2
	buffer_wbinvl1_vol
	v_cmp_eq_u64_e32 vcc, v[6:7], v[4:5]
	s_or_b64 s[10:11], vcc, s[10:11]
	s_andn2_b64 exec, exec, s[10:11]
	s_cbranch_execnz .LBB5_140
; %bb.141:
	s_or_b64 exec, exec, s[10:11]
.LBB5_142:
	s_or_b64 exec, exec, s[8:9]
.LBB5_143:
	s_or_b64 exec, exec, s[6:7]
	v_mov_b32_e32 v5, 0
	global_load_dwordx2 v[8:9], v5, s[34:35] offset:40
	global_load_dwordx4 v[0:3], v5, s[34:35]
	v_readfirstlane_b32 s6, v6
	v_readfirstlane_b32 s7, v7
	s_mov_b64 s[8:9], exec
	s_waitcnt vmcnt(1)
	v_readfirstlane_b32 s10, v8
	v_readfirstlane_b32 s11, v9
	s_and_b64 s[10:11], s[6:7], s[10:11]
	s_mul_i32 s12, s11, 24
	s_mul_hi_u32 s13, s10, 24
	s_mul_i32 s14, s10, 24
	s_add_i32 s12, s13, s12
	v_mov_b32_e32 v4, s12
	s_waitcnt vmcnt(0)
	v_add_co_u32_e32 v8, vcc, s14, v0
	v_addc_co_u32_e32 v9, vcc, v1, v4, vcc
	s_and_saveexec_b64 s[12:13], s[4:5]
	s_cbranch_execz .LBB5_145
; %bb.144:
	v_pk_mov_b32 v[10:11], s[8:9], s[8:9] op_sel:[0,1]
	v_mov_b32_e32 v12, 2
	v_mov_b32_e32 v13, 1
	global_store_dwordx4 v[8:9], v[10:13], off offset:8
.LBB5_145:
	s_or_b64 exec, exec, s[12:13]
	s_lshl_b64 s[8:9], s[10:11], 12
	v_mov_b32_e32 v4, s9
	v_add_co_u32_e32 v2, vcc, s8, v2
	v_addc_co_u32_e32 v3, vcc, v3, v4, vcc
	s_mov_b32 s8, 0
	v_add_co_u32_e32 v10, vcc, v2, v50
	v_mov_b32_e32 v4, 33
	v_mov_b32_e32 v6, v5
	;; [unrolled: 1-line block ×3, first 2 shown]
	v_readfirstlane_b32 s12, v2
	v_readfirstlane_b32 s13, v3
	s_mov_b32 s9, s8
	v_addc_co_u32_e32 v11, vcc, 0, v3, vcc
	s_mov_b32 s10, s8
	s_mov_b32 s11, s8
	s_nop 0
	global_store_dwordx4 v50, v[4:7], s[12:13]
	v_pk_mov_b32 v[2:3], s[8:9], s[8:9] op_sel:[0,1]
	v_pk_mov_b32 v[4:5], s[10:11], s[10:11] op_sel:[0,1]
	global_store_dwordx4 v50, v[2:5], s[12:13] offset:16
	global_store_dwordx4 v50, v[2:5], s[12:13] offset:32
	;; [unrolled: 1-line block ×3, first 2 shown]
	s_and_saveexec_b64 s[8:9], s[4:5]
	s_cbranch_execz .LBB5_153
; %bb.146:
	v_mov_b32_e32 v6, 0
	global_load_dwordx2 v[14:15], v6, s[34:35] offset:32 glc
	global_load_dwordx2 v[2:3], v6, s[34:35] offset:40
	v_mov_b32_e32 v12, s6
	v_mov_b32_e32 v13, s7
	s_waitcnt vmcnt(0)
	v_readfirstlane_b32 s10, v2
	v_readfirstlane_b32 s11, v3
	s_and_b64 s[10:11], s[10:11], s[6:7]
	s_mul_i32 s11, s11, 24
	s_mul_hi_u32 s12, s10, 24
	s_mul_i32 s10, s10, 24
	s_add_i32 s11, s12, s11
	v_mov_b32_e32 v2, s11
	v_add_co_u32_e32 v4, vcc, s10, v0
	v_addc_co_u32_e32 v5, vcc, v1, v2, vcc
	global_store_dwordx2 v[4:5], v[14:15], off
	buffer_wbl2
	s_waitcnt vmcnt(0)
	global_atomic_cmpswap_x2 v[2:3], v6, v[12:15], s[34:35] offset:32 glc
	s_waitcnt vmcnt(0)
	v_cmp_ne_u64_e32 vcc, v[2:3], v[14:15]
	s_and_saveexec_b64 s[10:11], vcc
	s_cbranch_execz .LBB5_149
; %bb.147:
	s_mov_b64 s[12:13], 0
.LBB5_148:                              ; =>This Inner Loop Header: Depth=1
	s_sleep 1
	global_store_dwordx2 v[4:5], v[2:3], off
	v_mov_b32_e32 v0, s6
	v_mov_b32_e32 v1, s7
	buffer_wbl2
	s_waitcnt vmcnt(0)
	global_atomic_cmpswap_x2 v[0:1], v6, v[0:3], s[34:35] offset:32 glc
	s_waitcnt vmcnt(0)
	v_cmp_eq_u64_e32 vcc, v[0:1], v[2:3]
	s_or_b64 s[12:13], vcc, s[12:13]
	v_pk_mov_b32 v[2:3], v[0:1], v[0:1] op_sel:[0,1]
	s_andn2_b64 exec, exec, s[12:13]
	s_cbranch_execnz .LBB5_148
.LBB5_149:
	s_or_b64 exec, exec, s[10:11]
	v_mov_b32_e32 v3, 0
	global_load_dwordx2 v[0:1], v3, s[34:35] offset:16
	s_mov_b64 s[10:11], exec
	v_mbcnt_lo_u32_b32 v2, s10, 0
	v_mbcnt_hi_u32_b32 v2, s11, v2
	v_cmp_eq_u32_e32 vcc, 0, v2
	s_and_saveexec_b64 s[12:13], vcc
	s_cbranch_execz .LBB5_151
; %bb.150:
	s_bcnt1_i32_b64 s10, s[10:11]
	v_mov_b32_e32 v2, s10
	buffer_wbl2
	s_waitcnt vmcnt(0)
	global_atomic_add_x2 v[0:1], v[2:3], off offset:8
.LBB5_151:
	s_or_b64 exec, exec, s[12:13]
	s_waitcnt vmcnt(0)
	global_load_dwordx2 v[2:3], v[0:1], off offset:16
	s_waitcnt vmcnt(0)
	v_cmp_eq_u64_e32 vcc, 0, v[2:3]
	s_cbranch_vccnz .LBB5_153
; %bb.152:
	global_load_dword v0, v[0:1], off offset:24
	v_mov_b32_e32 v1, 0
	buffer_wbl2
	s_waitcnt vmcnt(0)
	global_store_dwordx2 v[2:3], v[0:1], off
	v_and_b32_e32 v0, 0xffffff, v0
	v_readfirstlane_b32 m0, v0
	s_sendmsg sendmsg(MSG_INTERRUPT)
.LBB5_153:
	s_or_b64 exec, exec, s[8:9]
	s_branch .LBB5_157
.LBB5_154:                              ;   in Loop: Header=BB5_157 Depth=1
	s_or_b64 exec, exec, s[8:9]
	v_readfirstlane_b32 s8, v0
	s_cmp_eq_u32 s8, 0
	s_cbranch_scc1 .LBB5_156
; %bb.155:                              ;   in Loop: Header=BB5_157 Depth=1
	s_sleep 1
	s_cbranch_execnz .LBB5_157
	s_branch .LBB5_159
.LBB5_156:
	s_branch .LBB5_159
.LBB5_157:                              ; =>This Inner Loop Header: Depth=1
	v_mov_b32_e32 v0, 1
	s_and_saveexec_b64 s[8:9], s[4:5]
	s_cbranch_execz .LBB5_154
; %bb.158:                              ;   in Loop: Header=BB5_157 Depth=1
	global_load_dword v0, v[8:9], off offset:20 glc
	s_waitcnt vmcnt(0)
	buffer_invl2
	buffer_wbinvl1_vol
	v_and_b32_e32 v0, 1, v0
	s_branch .LBB5_154
.LBB5_159:
	global_load_dwordx2 v[0:1], v[10:11], off
	s_and_saveexec_b64 s[8:9], s[4:5]
	s_cbranch_execz .LBB5_162
; %bb.160:
	v_mov_b32_e32 v8, 0
	global_load_dwordx2 v[6:7], v8, s[34:35] offset:40
	global_load_dwordx2 v[10:11], v8, s[34:35] offset:24 glc
	global_load_dwordx2 v[12:13], v8, s[34:35]
	v_mov_b32_e32 v3, s7
	s_mov_b64 s[4:5], 0
	s_waitcnt vmcnt(2)
	v_add_co_u32_e32 v5, vcc, 1, v6
	v_addc_co_u32_e32 v9, vcc, 0, v7, vcc
	v_add_co_u32_e32 v2, vcc, s6, v5
	v_addc_co_u32_e32 v3, vcc, v9, v3, vcc
	v_cmp_eq_u64_e32 vcc, 0, v[2:3]
	v_cndmask_b32_e32 v3, v3, v9, vcc
	v_cndmask_b32_e32 v2, v2, v5, vcc
	v_and_b32_e32 v5, v3, v7
	v_and_b32_e32 v6, v2, v6
	v_mul_lo_u32 v5, v5, 24
	v_mul_hi_u32 v7, v6, 24
	v_mul_lo_u32 v6, v6, 24
	v_add_u32_e32 v5, v7, v5
	s_waitcnt vmcnt(0)
	v_add_co_u32_e32 v6, vcc, v12, v6
	v_addc_co_u32_e32 v7, vcc, v13, v5, vcc
	v_mov_b32_e32 v4, v10
	global_store_dwordx2 v[6:7], v[10:11], off
	v_mov_b32_e32 v5, v11
	buffer_wbl2
	s_waitcnt vmcnt(0)
	global_atomic_cmpswap_x2 v[4:5], v8, v[2:5], s[34:35] offset:24 glc
	s_waitcnt vmcnt(0)
	v_cmp_ne_u64_e32 vcc, v[4:5], v[10:11]
	s_and_b64 exec, exec, vcc
	s_cbranch_execz .LBB5_162
.LBB5_161:                              ; =>This Inner Loop Header: Depth=1
	s_sleep 1
	global_store_dwordx2 v[6:7], v[4:5], off
	buffer_wbl2
	s_waitcnt vmcnt(0)
	global_atomic_cmpswap_x2 v[10:11], v8, v[2:5], s[34:35] offset:24 glc
	s_waitcnt vmcnt(0)
	v_cmp_eq_u64_e32 vcc, v[10:11], v[4:5]
	s_or_b64 s[4:5], vcc, s[4:5]
	v_pk_mov_b32 v[4:5], v[10:11], v[10:11] op_sel:[0,1]
	s_andn2_b64 exec, exec, s[4:5]
	s_cbranch_execnz .LBB5_161
.LBB5_162:
	s_or_b64 exec, exec, s[8:9]
	s_getpc_b64 s[6:7]
	s_add_u32 s6, s6, .str.1@rel32@lo+4
	s_addc_u32 s7, s7, .str.1@rel32@hi+12
	s_cmp_lg_u64 s[6:7], 0
	s_cbranch_scc0 .LBB5_247
; %bb.163:
	s_waitcnt vmcnt(0)
	v_and_b32_e32 v6, -3, v0
	v_mov_b32_e32 v7, v1
	s_mov_b64 s[8:9], 29
	v_mov_b32_e32 v27, 0
	v_mov_b32_e32 v4, 2
	;; [unrolled: 1-line block ×3, first 2 shown]
	s_branch .LBB5_165
.LBB5_164:                              ;   in Loop: Header=BB5_165 Depth=1
	s_or_b64 exec, exec, s[14:15]
	s_sub_u32 s8, s8, s10
	s_subb_u32 s9, s9, s11
	s_add_u32 s6, s6, s10
	s_addc_u32 s7, s7, s11
	s_cmp_lg_u64 s[8:9], 0
	s_cbranch_scc0 .LBB5_246
.LBB5_165:                              ; =>This Loop Header: Depth=1
                                        ;     Child Loop BB5_168 Depth 2
                                        ;     Child Loop BB5_175 Depth 2
	;; [unrolled: 1-line block ×11, first 2 shown]
	v_cmp_lt_u64_e64 s[4:5], s[8:9], 56
	s_and_b64 s[4:5], s[4:5], exec
	v_cmp_gt_u64_e64 s[4:5], s[8:9], 7
	s_cselect_b32 s11, s9, 0
	s_cselect_b32 s10, s8, 56
	s_and_b64 vcc, exec, s[4:5]
	s_cbranch_vccnz .LBB5_170
; %bb.166:                              ;   in Loop: Header=BB5_165 Depth=1
	s_mov_b64 s[4:5], 0
	s_cmp_eq_u64 s[8:9], 0
	s_waitcnt vmcnt(0)
	v_pk_mov_b32 v[8:9], 0, 0
	s_cbranch_scc1 .LBB5_169
; %bb.167:                              ;   in Loop: Header=BB5_165 Depth=1
	s_lshl_b64 s[12:13], s[10:11], 3
	s_mov_b64 s[14:15], 0
	v_pk_mov_b32 v[8:9], 0, 0
	s_mov_b64 s[16:17], s[6:7]
.LBB5_168:                              ;   Parent Loop BB5_165 Depth=1
                                        ; =>  This Inner Loop Header: Depth=2
	global_load_ubyte v2, v27, s[16:17]
	s_waitcnt vmcnt(0)
	v_and_b32_e32 v26, 0xffff, v2
	v_lshlrev_b64 v[2:3], s14, v[26:27]
	s_add_u32 s14, s14, 8
	s_addc_u32 s15, s15, 0
	s_add_u32 s16, s16, 1
	s_addc_u32 s17, s17, 0
	v_or_b32_e32 v8, v2, v8
	s_cmp_lg_u32 s12, s14
	v_or_b32_e32 v9, v3, v9
	s_cbranch_scc1 .LBB5_168
.LBB5_169:                              ;   in Loop: Header=BB5_165 Depth=1
	s_mov_b32 s16, 0
	s_andn2_b64 vcc, exec, s[4:5]
	s_mov_b64 s[4:5], s[6:7]
	s_cbranch_vccz .LBB5_171
	s_branch .LBB5_172
.LBB5_170:                              ;   in Loop: Header=BB5_165 Depth=1
                                        ; implicit-def: $sgpr16
	s_mov_b64 s[4:5], s[6:7]
.LBB5_171:                              ;   in Loop: Header=BB5_165 Depth=1
	global_load_dwordx2 v[8:9], v27, s[6:7]
	s_add_i32 s16, s10, -8
	s_add_u32 s4, s6, 8
	s_addc_u32 s5, s7, 0
.LBB5_172:                              ;   in Loop: Header=BB5_165 Depth=1
	s_cmp_gt_u32 s16, 7
	s_cbranch_scc1 .LBB5_176
; %bb.173:                              ;   in Loop: Header=BB5_165 Depth=1
	s_cmp_eq_u32 s16, 0
	s_cbranch_scc1 .LBB5_177
; %bb.174:                              ;   in Loop: Header=BB5_165 Depth=1
	s_mov_b64 s[12:13], 0
	v_pk_mov_b32 v[10:11], 0, 0
	s_mov_b64 s[14:15], 0
.LBB5_175:                              ;   Parent Loop BB5_165 Depth=1
                                        ; =>  This Inner Loop Header: Depth=2
	s_add_u32 s18, s4, s14
	s_addc_u32 s19, s5, s15
	global_load_ubyte v2, v27, s[18:19]
	s_add_u32 s14, s14, 1
	s_addc_u32 s15, s15, 0
	s_waitcnt vmcnt(0)
	v_and_b32_e32 v26, 0xffff, v2
	v_lshlrev_b64 v[2:3], s12, v[26:27]
	s_add_u32 s12, s12, 8
	s_addc_u32 s13, s13, 0
	v_or_b32_e32 v10, v2, v10
	s_cmp_lg_u32 s16, s14
	v_or_b32_e32 v11, v3, v11
	s_cbranch_scc1 .LBB5_175
	s_branch .LBB5_178
.LBB5_176:                              ;   in Loop: Header=BB5_165 Depth=1
                                        ; implicit-def: $vgpr10_vgpr11
                                        ; implicit-def: $sgpr17
	s_branch .LBB5_179
.LBB5_177:                              ;   in Loop: Header=BB5_165 Depth=1
	v_pk_mov_b32 v[10:11], 0, 0
.LBB5_178:                              ;   in Loop: Header=BB5_165 Depth=1
	s_mov_b32 s17, 0
	s_cbranch_execnz .LBB5_180
.LBB5_179:                              ;   in Loop: Header=BB5_165 Depth=1
	global_load_dwordx2 v[10:11], v27, s[4:5]
	s_add_i32 s17, s16, -8
	s_add_u32 s4, s4, 8
	s_addc_u32 s5, s5, 0
.LBB5_180:                              ;   in Loop: Header=BB5_165 Depth=1
	s_cmp_gt_u32 s17, 7
	s_cbranch_scc1 .LBB5_184
; %bb.181:                              ;   in Loop: Header=BB5_165 Depth=1
	s_cmp_eq_u32 s17, 0
	s_cbranch_scc1 .LBB5_185
; %bb.182:                              ;   in Loop: Header=BB5_165 Depth=1
	s_mov_b64 s[12:13], 0
	v_pk_mov_b32 v[12:13], 0, 0
	s_mov_b64 s[14:15], 0
.LBB5_183:                              ;   Parent Loop BB5_165 Depth=1
                                        ; =>  This Inner Loop Header: Depth=2
	s_add_u32 s18, s4, s14
	s_addc_u32 s19, s5, s15
	global_load_ubyte v2, v27, s[18:19]
	s_add_u32 s14, s14, 1
	s_addc_u32 s15, s15, 0
	s_waitcnt vmcnt(0)
	v_and_b32_e32 v26, 0xffff, v2
	v_lshlrev_b64 v[2:3], s12, v[26:27]
	s_add_u32 s12, s12, 8
	s_addc_u32 s13, s13, 0
	v_or_b32_e32 v12, v2, v12
	s_cmp_lg_u32 s17, s14
	v_or_b32_e32 v13, v3, v13
	s_cbranch_scc1 .LBB5_183
	s_branch .LBB5_186
.LBB5_184:                              ;   in Loop: Header=BB5_165 Depth=1
                                        ; implicit-def: $sgpr16
	s_branch .LBB5_187
.LBB5_185:                              ;   in Loop: Header=BB5_165 Depth=1
	v_pk_mov_b32 v[12:13], 0, 0
.LBB5_186:                              ;   in Loop: Header=BB5_165 Depth=1
	s_mov_b32 s16, 0
	s_cbranch_execnz .LBB5_188
.LBB5_187:                              ;   in Loop: Header=BB5_165 Depth=1
	global_load_dwordx2 v[12:13], v27, s[4:5]
	s_add_i32 s16, s17, -8
	s_add_u32 s4, s4, 8
	s_addc_u32 s5, s5, 0
.LBB5_188:                              ;   in Loop: Header=BB5_165 Depth=1
	s_cmp_gt_u32 s16, 7
	s_cbranch_scc1 .LBB5_192
; %bb.189:                              ;   in Loop: Header=BB5_165 Depth=1
	s_cmp_eq_u32 s16, 0
	s_cbranch_scc1 .LBB5_193
; %bb.190:                              ;   in Loop: Header=BB5_165 Depth=1
	s_mov_b64 s[12:13], 0
	v_pk_mov_b32 v[14:15], 0, 0
	s_mov_b64 s[14:15], 0
.LBB5_191:                              ;   Parent Loop BB5_165 Depth=1
                                        ; =>  This Inner Loop Header: Depth=2
	s_add_u32 s18, s4, s14
	s_addc_u32 s19, s5, s15
	global_load_ubyte v2, v27, s[18:19]
	s_add_u32 s14, s14, 1
	s_addc_u32 s15, s15, 0
	s_waitcnt vmcnt(0)
	v_and_b32_e32 v26, 0xffff, v2
	v_lshlrev_b64 v[2:3], s12, v[26:27]
	s_add_u32 s12, s12, 8
	s_addc_u32 s13, s13, 0
	v_or_b32_e32 v14, v2, v14
	s_cmp_lg_u32 s16, s14
	v_or_b32_e32 v15, v3, v15
	s_cbranch_scc1 .LBB5_191
	s_branch .LBB5_194
.LBB5_192:                              ;   in Loop: Header=BB5_165 Depth=1
                                        ; implicit-def: $vgpr14_vgpr15
                                        ; implicit-def: $sgpr17
	s_branch .LBB5_195
.LBB5_193:                              ;   in Loop: Header=BB5_165 Depth=1
	v_pk_mov_b32 v[14:15], 0, 0
.LBB5_194:                              ;   in Loop: Header=BB5_165 Depth=1
	s_mov_b32 s17, 0
	s_cbranch_execnz .LBB5_196
.LBB5_195:                              ;   in Loop: Header=BB5_165 Depth=1
	global_load_dwordx2 v[14:15], v27, s[4:5]
	s_add_i32 s17, s16, -8
	s_add_u32 s4, s4, 8
	s_addc_u32 s5, s5, 0
.LBB5_196:                              ;   in Loop: Header=BB5_165 Depth=1
	s_cmp_gt_u32 s17, 7
	s_cbranch_scc1 .LBB5_200
; %bb.197:                              ;   in Loop: Header=BB5_165 Depth=1
	s_cmp_eq_u32 s17, 0
	s_cbranch_scc1 .LBB5_201
; %bb.198:                              ;   in Loop: Header=BB5_165 Depth=1
	s_mov_b64 s[12:13], 0
	v_pk_mov_b32 v[16:17], 0, 0
	s_mov_b64 s[14:15], 0
.LBB5_199:                              ;   Parent Loop BB5_165 Depth=1
                                        ; =>  This Inner Loop Header: Depth=2
	s_add_u32 s18, s4, s14
	s_addc_u32 s19, s5, s15
	global_load_ubyte v2, v27, s[18:19]
	s_add_u32 s14, s14, 1
	s_addc_u32 s15, s15, 0
	s_waitcnt vmcnt(0)
	v_and_b32_e32 v26, 0xffff, v2
	v_lshlrev_b64 v[2:3], s12, v[26:27]
	s_add_u32 s12, s12, 8
	s_addc_u32 s13, s13, 0
	v_or_b32_e32 v16, v2, v16
	s_cmp_lg_u32 s17, s14
	v_or_b32_e32 v17, v3, v17
	s_cbranch_scc1 .LBB5_199
	s_branch .LBB5_202
.LBB5_200:                              ;   in Loop: Header=BB5_165 Depth=1
                                        ; implicit-def: $sgpr16
	s_branch .LBB5_203
.LBB5_201:                              ;   in Loop: Header=BB5_165 Depth=1
	v_pk_mov_b32 v[16:17], 0, 0
.LBB5_202:                              ;   in Loop: Header=BB5_165 Depth=1
	s_mov_b32 s16, 0
	s_cbranch_execnz .LBB5_204
.LBB5_203:                              ;   in Loop: Header=BB5_165 Depth=1
	global_load_dwordx2 v[16:17], v27, s[4:5]
	s_add_i32 s16, s17, -8
	s_add_u32 s4, s4, 8
	s_addc_u32 s5, s5, 0
.LBB5_204:                              ;   in Loop: Header=BB5_165 Depth=1
	s_cmp_gt_u32 s16, 7
	s_cbranch_scc1 .LBB5_208
; %bb.205:                              ;   in Loop: Header=BB5_165 Depth=1
	s_cmp_eq_u32 s16, 0
	s_cbranch_scc1 .LBB5_209
; %bb.206:                              ;   in Loop: Header=BB5_165 Depth=1
	s_mov_b64 s[12:13], 0
	v_pk_mov_b32 v[18:19], 0, 0
	s_mov_b64 s[14:15], 0
.LBB5_207:                              ;   Parent Loop BB5_165 Depth=1
                                        ; =>  This Inner Loop Header: Depth=2
	s_add_u32 s18, s4, s14
	s_addc_u32 s19, s5, s15
	global_load_ubyte v2, v27, s[18:19]
	s_add_u32 s14, s14, 1
	s_addc_u32 s15, s15, 0
	s_waitcnt vmcnt(0)
	v_and_b32_e32 v26, 0xffff, v2
	v_lshlrev_b64 v[2:3], s12, v[26:27]
	s_add_u32 s12, s12, 8
	s_addc_u32 s13, s13, 0
	v_or_b32_e32 v18, v2, v18
	s_cmp_lg_u32 s16, s14
	v_or_b32_e32 v19, v3, v19
	s_cbranch_scc1 .LBB5_207
	s_branch .LBB5_210
.LBB5_208:                              ;   in Loop: Header=BB5_165 Depth=1
                                        ; implicit-def: $vgpr18_vgpr19
                                        ; implicit-def: $sgpr17
	s_branch .LBB5_211
.LBB5_209:                              ;   in Loop: Header=BB5_165 Depth=1
	v_pk_mov_b32 v[18:19], 0, 0
.LBB5_210:                              ;   in Loop: Header=BB5_165 Depth=1
	s_mov_b32 s17, 0
	s_cbranch_execnz .LBB5_212
.LBB5_211:                              ;   in Loop: Header=BB5_165 Depth=1
	global_load_dwordx2 v[18:19], v27, s[4:5]
	s_add_i32 s17, s16, -8
	s_add_u32 s4, s4, 8
	s_addc_u32 s5, s5, 0
.LBB5_212:                              ;   in Loop: Header=BB5_165 Depth=1
	s_cmp_gt_u32 s17, 7
	s_cbranch_scc1 .LBB5_216
; %bb.213:                              ;   in Loop: Header=BB5_165 Depth=1
	s_cmp_eq_u32 s17, 0
	s_cbranch_scc1 .LBB5_217
; %bb.214:                              ;   in Loop: Header=BB5_165 Depth=1
	s_mov_b64 s[12:13], 0
	v_pk_mov_b32 v[20:21], 0, 0
	s_mov_b64 s[14:15], s[4:5]
.LBB5_215:                              ;   Parent Loop BB5_165 Depth=1
                                        ; =>  This Inner Loop Header: Depth=2
	global_load_ubyte v2, v27, s[14:15]
	s_add_i32 s17, s17, -1
	s_waitcnt vmcnt(0)
	v_and_b32_e32 v26, 0xffff, v2
	v_lshlrev_b64 v[2:3], s12, v[26:27]
	s_add_u32 s12, s12, 8
	s_addc_u32 s13, s13, 0
	s_add_u32 s14, s14, 1
	s_addc_u32 s15, s15, 0
	v_or_b32_e32 v20, v2, v20
	s_cmp_lg_u32 s17, 0
	v_or_b32_e32 v21, v3, v21
	s_cbranch_scc1 .LBB5_215
	s_branch .LBB5_218
.LBB5_216:                              ;   in Loop: Header=BB5_165 Depth=1
	s_branch .LBB5_219
.LBB5_217:                              ;   in Loop: Header=BB5_165 Depth=1
	v_pk_mov_b32 v[20:21], 0, 0
.LBB5_218:                              ;   in Loop: Header=BB5_165 Depth=1
	s_cbranch_execnz .LBB5_220
.LBB5_219:                              ;   in Loop: Header=BB5_165 Depth=1
	global_load_dwordx2 v[20:21], v27, s[4:5]
.LBB5_220:                              ;   in Loop: Header=BB5_165 Depth=1
	v_readfirstlane_b32 s4, v51
	v_cmp_eq_u32_e64 s[4:5], s4, v51
	v_pk_mov_b32 v[2:3], 0, 0
	s_and_saveexec_b64 s[12:13], s[4:5]
	s_cbranch_execz .LBB5_226
; %bb.221:                              ;   in Loop: Header=BB5_165 Depth=1
	global_load_dwordx2 v[24:25], v27, s[34:35] offset:24 glc
	s_waitcnt vmcnt(0)
	buffer_invl2
	buffer_wbinvl1_vol
	global_load_dwordx2 v[2:3], v27, s[34:35] offset:40
	global_load_dwordx2 v[22:23], v27, s[34:35]
	s_waitcnt vmcnt(1)
	v_and_b32_e32 v2, v2, v24
	v_and_b32_e32 v3, v3, v25
	v_mul_lo_u32 v3, v3, 24
	v_mul_hi_u32 v26, v2, 24
	v_mul_lo_u32 v2, v2, 24
	v_add_u32_e32 v3, v26, v3
	s_waitcnt vmcnt(0)
	v_add_co_u32_e32 v2, vcc, v22, v2
	v_addc_co_u32_e32 v3, vcc, v23, v3, vcc
	global_load_dwordx2 v[22:23], v[2:3], off glc
	s_waitcnt vmcnt(0)
	global_atomic_cmpswap_x2 v[2:3], v27, v[22:25], s[34:35] offset:24 glc
	s_waitcnt vmcnt(0)
	buffer_invl2
	buffer_wbinvl1_vol
	v_cmp_ne_u64_e32 vcc, v[2:3], v[24:25]
	s_and_saveexec_b64 s[14:15], vcc
	s_cbranch_execz .LBB5_225
; %bb.222:                              ;   in Loop: Header=BB5_165 Depth=1
	s_mov_b64 s[16:17], 0
.LBB5_223:                              ;   Parent Loop BB5_165 Depth=1
                                        ; =>  This Inner Loop Header: Depth=2
	s_sleep 1
	global_load_dwordx2 v[22:23], v27, s[34:35] offset:40
	global_load_dwordx2 v[28:29], v27, s[34:35]
	v_pk_mov_b32 v[24:25], v[2:3], v[2:3] op_sel:[0,1]
	s_waitcnt vmcnt(1)
	v_and_b32_e32 v2, v22, v24
	s_waitcnt vmcnt(0)
	v_mad_u64_u32 v[2:3], s[18:19], v2, 24, v[28:29]
	v_and_b32_e32 v23, v23, v25
	v_mov_b32_e32 v22, v3
	v_mad_u64_u32 v[22:23], s[18:19], v23, 24, v[22:23]
	v_mov_b32_e32 v3, v22
	global_load_dwordx2 v[22:23], v[2:3], off glc
	s_waitcnt vmcnt(0)
	global_atomic_cmpswap_x2 v[2:3], v27, v[22:25], s[34:35] offset:24 glc
	s_waitcnt vmcnt(0)
	buffer_invl2
	buffer_wbinvl1_vol
	v_cmp_eq_u64_e32 vcc, v[2:3], v[24:25]
	s_or_b64 s[16:17], vcc, s[16:17]
	s_andn2_b64 exec, exec, s[16:17]
	s_cbranch_execnz .LBB5_223
; %bb.224:                              ;   in Loop: Header=BB5_165 Depth=1
	s_or_b64 exec, exec, s[16:17]
.LBB5_225:                              ;   in Loop: Header=BB5_165 Depth=1
	s_or_b64 exec, exec, s[14:15]
.LBB5_226:                              ;   in Loop: Header=BB5_165 Depth=1
	s_or_b64 exec, exec, s[12:13]
	global_load_dwordx2 v[28:29], v27, s[34:35] offset:40
	global_load_dwordx4 v[22:25], v27, s[34:35]
	v_readfirstlane_b32 s12, v2
	v_readfirstlane_b32 s13, v3
	s_mov_b64 s[14:15], exec
	s_waitcnt vmcnt(1)
	v_readfirstlane_b32 s16, v28
	v_readfirstlane_b32 s17, v29
	s_and_b64 s[16:17], s[12:13], s[16:17]
	s_mul_i32 s18, s17, 24
	s_mul_hi_u32 s19, s16, 24
	s_mul_i32 s20, s16, 24
	s_add_i32 s18, s19, s18
	v_mov_b32_e32 v2, s18
	s_waitcnt vmcnt(0)
	v_add_co_u32_e32 v28, vcc, s20, v22
	v_addc_co_u32_e32 v29, vcc, v23, v2, vcc
	s_and_saveexec_b64 s[18:19], s[4:5]
	s_cbranch_execz .LBB5_228
; %bb.227:                              ;   in Loop: Header=BB5_165 Depth=1
	v_pk_mov_b32 v[2:3], s[14:15], s[14:15] op_sel:[0,1]
	global_store_dwordx4 v[28:29], v[2:5], off offset:8
.LBB5_228:                              ;   in Loop: Header=BB5_165 Depth=1
	s_or_b64 exec, exec, s[18:19]
	s_lshl_b64 s[14:15], s[16:17], 12
	v_mov_b32_e32 v3, s15
	v_add_co_u32_e32 v2, vcc, s14, v24
	v_addc_co_u32_e32 v3, vcc, v25, v3, vcc
	v_or_b32_e32 v24, 2, v6
	v_cmp_gt_u64_e64 vcc, s[8:9], 56
	s_lshl_b32 s14, s10, 2
	v_cndmask_b32_e32 v6, v24, v6, vcc
	s_add_i32 s14, s14, 28
	s_and_b32 s14, s14, 0x1e0
	v_and_b32_e32 v6, 0xffffff1f, v6
	v_or_b32_e32 v6, s14, v6
	v_readfirstlane_b32 s14, v2
	v_readfirstlane_b32 s15, v3
	s_nop 4
	global_store_dwordx4 v50, v[6:9], s[14:15]
	global_store_dwordx4 v50, v[10:13], s[14:15] offset:16
	global_store_dwordx4 v50, v[14:17], s[14:15] offset:32
	;; [unrolled: 1-line block ×3, first 2 shown]
	s_and_saveexec_b64 s[14:15], s[4:5]
	s_cbranch_execz .LBB5_236
; %bb.229:                              ;   in Loop: Header=BB5_165 Depth=1
	global_load_dwordx2 v[14:15], v27, s[34:35] offset:32 glc
	global_load_dwordx2 v[6:7], v27, s[34:35] offset:40
	v_mov_b32_e32 v12, s12
	v_mov_b32_e32 v13, s13
	s_waitcnt vmcnt(0)
	v_readfirstlane_b32 s16, v6
	v_readfirstlane_b32 s17, v7
	s_and_b64 s[16:17], s[16:17], s[12:13]
	s_mul_i32 s17, s17, 24
	s_mul_hi_u32 s18, s16, 24
	s_mul_i32 s16, s16, 24
	s_add_i32 s17, s18, s17
	v_mov_b32_e32 v6, s17
	v_add_co_u32_e32 v10, vcc, s16, v22
	v_addc_co_u32_e32 v11, vcc, v23, v6, vcc
	global_store_dwordx2 v[10:11], v[14:15], off
	buffer_wbl2
	s_waitcnt vmcnt(0)
	global_atomic_cmpswap_x2 v[8:9], v27, v[12:15], s[34:35] offset:32 glc
	s_waitcnt vmcnt(0)
	v_cmp_ne_u64_e32 vcc, v[8:9], v[14:15]
	s_and_saveexec_b64 s[16:17], vcc
	s_cbranch_execz .LBB5_232
; %bb.230:                              ;   in Loop: Header=BB5_165 Depth=1
	s_mov_b64 s[18:19], 0
.LBB5_231:                              ;   Parent Loop BB5_165 Depth=1
                                        ; =>  This Inner Loop Header: Depth=2
	s_sleep 1
	global_store_dwordx2 v[10:11], v[8:9], off
	v_mov_b32_e32 v6, s12
	v_mov_b32_e32 v7, s13
	buffer_wbl2
	s_waitcnt vmcnt(0)
	global_atomic_cmpswap_x2 v[6:7], v27, v[6:9], s[34:35] offset:32 glc
	s_waitcnt vmcnt(0)
	v_cmp_eq_u64_e32 vcc, v[6:7], v[8:9]
	s_or_b64 s[18:19], vcc, s[18:19]
	v_pk_mov_b32 v[8:9], v[6:7], v[6:7] op_sel:[0,1]
	s_andn2_b64 exec, exec, s[18:19]
	s_cbranch_execnz .LBB5_231
.LBB5_232:                              ;   in Loop: Header=BB5_165 Depth=1
	s_or_b64 exec, exec, s[16:17]
	global_load_dwordx2 v[6:7], v27, s[34:35] offset:16
	s_mov_b64 s[18:19], exec
	v_mbcnt_lo_u32_b32 v8, s18, 0
	v_mbcnt_hi_u32_b32 v8, s19, v8
	v_cmp_eq_u32_e32 vcc, 0, v8
	s_and_saveexec_b64 s[16:17], vcc
	s_cbranch_execz .LBB5_234
; %bb.233:                              ;   in Loop: Header=BB5_165 Depth=1
	s_bcnt1_i32_b64 s18, s[18:19]
	v_mov_b32_e32 v26, s18
	buffer_wbl2
	s_waitcnt vmcnt(0)
	global_atomic_add_x2 v[6:7], v[26:27], off offset:8
.LBB5_234:                              ;   in Loop: Header=BB5_165 Depth=1
	s_or_b64 exec, exec, s[16:17]
	s_waitcnt vmcnt(0)
	global_load_dwordx2 v[8:9], v[6:7], off offset:16
	s_waitcnt vmcnt(0)
	v_cmp_eq_u64_e32 vcc, 0, v[8:9]
	s_cbranch_vccnz .LBB5_236
; %bb.235:                              ;   in Loop: Header=BB5_165 Depth=1
	global_load_dword v26, v[6:7], off offset:24
	s_waitcnt vmcnt(0)
	v_and_b32_e32 v6, 0xffffff, v26
	v_readfirstlane_b32 m0, v6
	buffer_wbl2
	global_store_dwordx2 v[8:9], v[26:27], off
	s_sendmsg sendmsg(MSG_INTERRUPT)
.LBB5_236:                              ;   in Loop: Header=BB5_165 Depth=1
	s_or_b64 exec, exec, s[14:15]
	v_add_co_u32_e32 v2, vcc, v2, v50
	v_addc_co_u32_e32 v3, vcc, 0, v3, vcc
	s_branch .LBB5_240
.LBB5_237:                              ;   in Loop: Header=BB5_240 Depth=2
	s_or_b64 exec, exec, s[14:15]
	v_readfirstlane_b32 s14, v6
	s_cmp_eq_u32 s14, 0
	s_cbranch_scc1 .LBB5_239
; %bb.238:                              ;   in Loop: Header=BB5_240 Depth=2
	s_sleep 1
	s_cbranch_execnz .LBB5_240
	s_branch .LBB5_242
.LBB5_239:                              ;   in Loop: Header=BB5_165 Depth=1
	s_branch .LBB5_242
.LBB5_240:                              ;   Parent Loop BB5_165 Depth=1
                                        ; =>  This Inner Loop Header: Depth=2
	v_mov_b32_e32 v6, 1
	s_and_saveexec_b64 s[14:15], s[4:5]
	s_cbranch_execz .LBB5_237
; %bb.241:                              ;   in Loop: Header=BB5_240 Depth=2
	global_load_dword v6, v[28:29], off offset:20 glc
	s_waitcnt vmcnt(0)
	buffer_invl2
	buffer_wbinvl1_vol
	v_and_b32_e32 v6, 1, v6
	s_branch .LBB5_237
.LBB5_242:                              ;   in Loop: Header=BB5_165 Depth=1
	global_load_dwordx4 v[6:9], v[2:3], off
	s_and_saveexec_b64 s[14:15], s[4:5]
	s_cbranch_execz .LBB5_164
; %bb.243:                              ;   in Loop: Header=BB5_165 Depth=1
	global_load_dwordx2 v[2:3], v27, s[34:35] offset:40
	global_load_dwordx2 v[12:13], v27, s[34:35] offset:24 glc
	global_load_dwordx2 v[14:15], v27, s[34:35]
	s_waitcnt vmcnt(3)
	v_mov_b32_e32 v9, s13
	s_waitcnt vmcnt(2)
	v_add_co_u32_e32 v11, vcc, 1, v2
	v_addc_co_u32_e32 v16, vcc, 0, v3, vcc
	v_add_co_u32_e32 v8, vcc, s12, v11
	v_addc_co_u32_e32 v9, vcc, v16, v9, vcc
	v_cmp_eq_u64_e32 vcc, 0, v[8:9]
	v_cndmask_b32_e32 v9, v9, v16, vcc
	v_cndmask_b32_e32 v8, v8, v11, vcc
	v_and_b32_e32 v3, v9, v3
	v_and_b32_e32 v2, v8, v2
	v_mul_lo_u32 v3, v3, 24
	v_mul_hi_u32 v11, v2, 24
	v_mul_lo_u32 v2, v2, 24
	v_add_u32_e32 v3, v11, v3
	s_waitcnt vmcnt(0)
	v_add_co_u32_e32 v2, vcc, v14, v2
	v_addc_co_u32_e32 v3, vcc, v15, v3, vcc
	v_mov_b32_e32 v10, v12
	global_store_dwordx2 v[2:3], v[12:13], off
	v_mov_b32_e32 v11, v13
	buffer_wbl2
	s_waitcnt vmcnt(0)
	global_atomic_cmpswap_x2 v[10:11], v27, v[8:11], s[34:35] offset:24 glc
	s_waitcnt vmcnt(0)
	v_cmp_ne_u64_e32 vcc, v[10:11], v[12:13]
	s_and_b64 exec, exec, vcc
	s_cbranch_execz .LBB5_164
; %bb.244:                              ;   in Loop: Header=BB5_165 Depth=1
	s_mov_b64 s[4:5], 0
.LBB5_245:                              ;   Parent Loop BB5_165 Depth=1
                                        ; =>  This Inner Loop Header: Depth=2
	s_sleep 1
	global_store_dwordx2 v[2:3], v[10:11], off
	buffer_wbl2
	s_waitcnt vmcnt(0)
	global_atomic_cmpswap_x2 v[12:13], v27, v[8:11], s[34:35] offset:24 glc
	s_waitcnt vmcnt(0)
	v_cmp_eq_u64_e32 vcc, v[12:13], v[10:11]
	s_or_b64 s[4:5], vcc, s[4:5]
	v_pk_mov_b32 v[10:11], v[12:13], v[12:13] op_sel:[0,1]
	s_andn2_b64 exec, exec, s[4:5]
	s_cbranch_execnz .LBB5_245
	s_branch .LBB5_164
.LBB5_246:
	s_branch .LBB5_274
.LBB5_247:
	s_cbranch_execz .LBB5_274
; %bb.248:
	v_readfirstlane_b32 s4, v51
	v_cmp_eq_u32_e64 s[4:5], s4, v51
	s_waitcnt vmcnt(0)
	v_pk_mov_b32 v[8:9], 0, 0
	s_and_saveexec_b64 s[6:7], s[4:5]
	s_cbranch_execz .LBB5_254
; %bb.249:
	v_mov_b32_e32 v2, 0
	global_load_dwordx2 v[6:7], v2, s[34:35] offset:24 glc
	s_waitcnt vmcnt(0)
	buffer_invl2
	buffer_wbinvl1_vol
	global_load_dwordx2 v[4:5], v2, s[34:35] offset:40
	global_load_dwordx2 v[8:9], v2, s[34:35]
	s_waitcnt vmcnt(1)
	v_and_b32_e32 v3, v4, v6
	v_and_b32_e32 v4, v5, v7
	v_mul_lo_u32 v4, v4, 24
	v_mul_hi_u32 v5, v3, 24
	v_mul_lo_u32 v3, v3, 24
	v_add_u32_e32 v5, v5, v4
	s_waitcnt vmcnt(0)
	v_add_co_u32_e32 v4, vcc, v8, v3
	v_addc_co_u32_e32 v5, vcc, v9, v5, vcc
	global_load_dwordx2 v[4:5], v[4:5], off glc
	s_waitcnt vmcnt(0)
	global_atomic_cmpswap_x2 v[8:9], v2, v[4:7], s[34:35] offset:24 glc
	s_waitcnt vmcnt(0)
	buffer_invl2
	buffer_wbinvl1_vol
	v_cmp_ne_u64_e32 vcc, v[8:9], v[6:7]
	s_and_saveexec_b64 s[8:9], vcc
	s_cbranch_execz .LBB5_253
; %bb.250:
	s_mov_b64 s[10:11], 0
.LBB5_251:                              ; =>This Inner Loop Header: Depth=1
	s_sleep 1
	global_load_dwordx2 v[4:5], v2, s[34:35] offset:40
	global_load_dwordx2 v[10:11], v2, s[34:35]
	v_pk_mov_b32 v[6:7], v[8:9], v[8:9] op_sel:[0,1]
	s_waitcnt vmcnt(1)
	v_and_b32_e32 v4, v4, v6
	v_and_b32_e32 v3, v5, v7
	s_waitcnt vmcnt(0)
	v_mad_u64_u32 v[4:5], s[12:13], v4, 24, v[10:11]
	v_mov_b32_e32 v8, v5
	v_mad_u64_u32 v[8:9], s[12:13], v3, 24, v[8:9]
	v_mov_b32_e32 v5, v8
	global_load_dwordx2 v[4:5], v[4:5], off glc
	s_waitcnt vmcnt(0)
	global_atomic_cmpswap_x2 v[8:9], v2, v[4:7], s[34:35] offset:24 glc
	s_waitcnt vmcnt(0)
	buffer_invl2
	buffer_wbinvl1_vol
	v_cmp_eq_u64_e32 vcc, v[8:9], v[6:7]
	s_or_b64 s[10:11], vcc, s[10:11]
	s_andn2_b64 exec, exec, s[10:11]
	s_cbranch_execnz .LBB5_251
; %bb.252:
	s_or_b64 exec, exec, s[10:11]
.LBB5_253:
	s_or_b64 exec, exec, s[8:9]
.LBB5_254:
	s_or_b64 exec, exec, s[6:7]
	v_mov_b32_e32 v2, 0
	global_load_dwordx2 v[10:11], v2, s[34:35] offset:40
	global_load_dwordx4 v[4:7], v2, s[34:35]
	v_readfirstlane_b32 s6, v8
	v_readfirstlane_b32 s7, v9
	s_mov_b64 s[8:9], exec
	s_waitcnt vmcnt(1)
	v_readfirstlane_b32 s10, v10
	v_readfirstlane_b32 s11, v11
	s_and_b64 s[10:11], s[6:7], s[10:11]
	s_mul_i32 s12, s11, 24
	s_mul_hi_u32 s13, s10, 24
	s_mul_i32 s14, s10, 24
	s_add_i32 s12, s13, s12
	v_mov_b32_e32 v3, s12
	s_waitcnt vmcnt(0)
	v_add_co_u32_e32 v8, vcc, s14, v4
	v_addc_co_u32_e32 v9, vcc, v5, v3, vcc
	s_and_saveexec_b64 s[12:13], s[4:5]
	s_cbranch_execz .LBB5_256
; %bb.255:
	v_pk_mov_b32 v[10:11], s[8:9], s[8:9] op_sel:[0,1]
	v_mov_b32_e32 v12, 2
	v_mov_b32_e32 v13, 1
	global_store_dwordx4 v[8:9], v[10:13], off offset:8
.LBB5_256:
	s_or_b64 exec, exec, s[12:13]
	s_lshl_b64 s[8:9], s[10:11], 12
	v_mov_b32_e32 v3, s9
	v_add_co_u32_e32 v6, vcc, s8, v6
	s_movk_i32 s8, 0xff1d
	v_addc_co_u32_e32 v7, vcc, v7, v3, vcc
	v_and_or_b32 v0, v0, s8, 34
	s_mov_b32 s8, 0
	v_mov_b32_e32 v3, v2
	v_readfirstlane_b32 s12, v6
	v_readfirstlane_b32 s13, v7
	s_mov_b32 s9, s8
	s_mov_b32 s10, s8
	;; [unrolled: 1-line block ×3, first 2 shown]
	s_nop 1
	global_store_dwordx4 v50, v[0:3], s[12:13]
	s_nop 0
	v_pk_mov_b32 v[0:1], s[8:9], s[8:9] op_sel:[0,1]
	v_pk_mov_b32 v[2:3], s[10:11], s[10:11] op_sel:[0,1]
	global_store_dwordx4 v50, v[0:3], s[12:13] offset:16
	global_store_dwordx4 v50, v[0:3], s[12:13] offset:32
	;; [unrolled: 1-line block ×3, first 2 shown]
	s_and_saveexec_b64 s[8:9], s[4:5]
	s_cbranch_execz .LBB5_264
; %bb.257:
	v_mov_b32_e32 v6, 0
	global_load_dwordx2 v[12:13], v6, s[34:35] offset:32 glc
	global_load_dwordx2 v[0:1], v6, s[34:35] offset:40
	v_mov_b32_e32 v10, s6
	v_mov_b32_e32 v11, s7
	s_waitcnt vmcnt(0)
	v_readfirstlane_b32 s10, v0
	v_readfirstlane_b32 s11, v1
	s_and_b64 s[10:11], s[10:11], s[6:7]
	s_mul_i32 s11, s11, 24
	s_mul_hi_u32 s12, s10, 24
	s_mul_i32 s10, s10, 24
	s_add_i32 s11, s12, s11
	v_mov_b32_e32 v0, s11
	v_add_co_u32_e32 v4, vcc, s10, v4
	v_addc_co_u32_e32 v5, vcc, v5, v0, vcc
	global_store_dwordx2 v[4:5], v[12:13], off
	buffer_wbl2
	s_waitcnt vmcnt(0)
	global_atomic_cmpswap_x2 v[2:3], v6, v[10:13], s[34:35] offset:32 glc
	s_waitcnt vmcnt(0)
	v_cmp_ne_u64_e32 vcc, v[2:3], v[12:13]
	s_and_saveexec_b64 s[10:11], vcc
	s_cbranch_execz .LBB5_260
; %bb.258:
	s_mov_b64 s[12:13], 0
.LBB5_259:                              ; =>This Inner Loop Header: Depth=1
	s_sleep 1
	global_store_dwordx2 v[4:5], v[2:3], off
	v_mov_b32_e32 v0, s6
	v_mov_b32_e32 v1, s7
	buffer_wbl2
	s_waitcnt vmcnt(0)
	global_atomic_cmpswap_x2 v[0:1], v6, v[0:3], s[34:35] offset:32 glc
	s_waitcnt vmcnt(0)
	v_cmp_eq_u64_e32 vcc, v[0:1], v[2:3]
	s_or_b64 s[12:13], vcc, s[12:13]
	v_pk_mov_b32 v[2:3], v[0:1], v[0:1] op_sel:[0,1]
	s_andn2_b64 exec, exec, s[12:13]
	s_cbranch_execnz .LBB5_259
.LBB5_260:
	s_or_b64 exec, exec, s[10:11]
	v_mov_b32_e32 v3, 0
	global_load_dwordx2 v[0:1], v3, s[34:35] offset:16
	s_mov_b64 s[10:11], exec
	v_mbcnt_lo_u32_b32 v2, s10, 0
	v_mbcnt_hi_u32_b32 v2, s11, v2
	v_cmp_eq_u32_e32 vcc, 0, v2
	s_and_saveexec_b64 s[12:13], vcc
	s_cbranch_execz .LBB5_262
; %bb.261:
	s_bcnt1_i32_b64 s10, s[10:11]
	v_mov_b32_e32 v2, s10
	buffer_wbl2
	s_waitcnt vmcnt(0)
	global_atomic_add_x2 v[0:1], v[2:3], off offset:8
.LBB5_262:
	s_or_b64 exec, exec, s[12:13]
	s_waitcnt vmcnt(0)
	global_load_dwordx2 v[2:3], v[0:1], off offset:16
	s_waitcnt vmcnt(0)
	v_cmp_eq_u64_e32 vcc, 0, v[2:3]
	s_cbranch_vccnz .LBB5_264
; %bb.263:
	global_load_dword v0, v[0:1], off offset:24
	v_mov_b32_e32 v1, 0
	buffer_wbl2
	s_waitcnt vmcnt(0)
	global_store_dwordx2 v[2:3], v[0:1], off
	v_and_b32_e32 v0, 0xffffff, v0
	v_readfirstlane_b32 m0, v0
	s_sendmsg sendmsg(MSG_INTERRUPT)
.LBB5_264:
	s_or_b64 exec, exec, s[8:9]
	s_branch .LBB5_268
.LBB5_265:                              ;   in Loop: Header=BB5_268 Depth=1
	s_or_b64 exec, exec, s[8:9]
	v_readfirstlane_b32 s8, v0
	s_cmp_eq_u32 s8, 0
	s_cbranch_scc1 .LBB5_267
; %bb.266:                              ;   in Loop: Header=BB5_268 Depth=1
	s_sleep 1
	s_cbranch_execnz .LBB5_268
	s_branch .LBB5_270
.LBB5_267:
	s_branch .LBB5_270
.LBB5_268:                              ; =>This Inner Loop Header: Depth=1
	v_mov_b32_e32 v0, 1
	s_and_saveexec_b64 s[8:9], s[4:5]
	s_cbranch_execz .LBB5_265
; %bb.269:                              ;   in Loop: Header=BB5_268 Depth=1
	global_load_dword v0, v[8:9], off offset:20 glc
	s_waitcnt vmcnt(0)
	buffer_invl2
	buffer_wbinvl1_vol
	v_and_b32_e32 v0, 1, v0
	s_branch .LBB5_265
.LBB5_270:
	s_and_saveexec_b64 s[8:9], s[4:5]
	s_cbranch_execz .LBB5_273
; %bb.271:
	v_mov_b32_e32 v6, 0
	global_load_dwordx2 v[4:5], v6, s[34:35] offset:40
	global_load_dwordx2 v[8:9], v6, s[34:35] offset:24 glc
	global_load_dwordx2 v[10:11], v6, s[34:35]
	v_mov_b32_e32 v1, s7
	s_mov_b64 s[4:5], 0
	s_waitcnt vmcnt(2)
	v_add_co_u32_e32 v3, vcc, 1, v4
	v_addc_co_u32_e32 v7, vcc, 0, v5, vcc
	v_add_co_u32_e32 v0, vcc, s6, v3
	v_addc_co_u32_e32 v1, vcc, v7, v1, vcc
	v_cmp_eq_u64_e32 vcc, 0, v[0:1]
	v_cndmask_b32_e32 v1, v1, v7, vcc
	v_cndmask_b32_e32 v0, v0, v3, vcc
	v_and_b32_e32 v3, v1, v5
	v_and_b32_e32 v4, v0, v4
	v_mul_lo_u32 v3, v3, 24
	v_mul_hi_u32 v5, v4, 24
	v_mul_lo_u32 v4, v4, 24
	v_add_u32_e32 v3, v5, v3
	s_waitcnt vmcnt(0)
	v_add_co_u32_e32 v4, vcc, v10, v4
	v_addc_co_u32_e32 v5, vcc, v11, v3, vcc
	v_mov_b32_e32 v2, v8
	global_store_dwordx2 v[4:5], v[8:9], off
	v_mov_b32_e32 v3, v9
	buffer_wbl2
	s_waitcnt vmcnt(0)
	global_atomic_cmpswap_x2 v[2:3], v6, v[0:3], s[34:35] offset:24 glc
	s_waitcnt vmcnt(0)
	v_cmp_ne_u64_e32 vcc, v[2:3], v[8:9]
	s_and_b64 exec, exec, vcc
	s_cbranch_execz .LBB5_273
.LBB5_272:                              ; =>This Inner Loop Header: Depth=1
	s_sleep 1
	global_store_dwordx2 v[4:5], v[2:3], off
	buffer_wbl2
	s_waitcnt vmcnt(0)
	global_atomic_cmpswap_x2 v[8:9], v6, v[0:3], s[34:35] offset:24 glc
	s_waitcnt vmcnt(0)
	v_cmp_eq_u64_e32 vcc, v[8:9], v[2:3]
	s_or_b64 s[4:5], vcc, s[4:5]
	v_pk_mov_b32 v[2:3], v[8:9], v[8:9] op_sel:[0,1]
	s_andn2_b64 exec, exec, s[4:5]
	s_cbranch_execnz .LBB5_272
.LBB5_273:
	s_or_b64 exec, exec, s[8:9]
.LBB5_274:
	s_load_dwordx16 s[36:51], s[26:27], 0x0
	v_mov_b32_e32 v3, 0
	s_waitcnt lgkmcnt(0)
	global_load_dword v33, v3, s[36:37]
	s_waitcnt vmcnt(0)
	v_cmp_gt_i32_e32 vcc, 1, v33
	s_cbranch_vccnz .LBB5_1594
; %bb.275:
	s_getpc_b64 s[4:5]
	s_add_u32 s4, s4, .str.2@rel32@lo+4
	s_addc_u32 s5, s5, .str.2@rel32@hi+12
	s_cmp_lg_u64 s[4:5], 0
	s_cselect_b64 s[6:7], -1, 0
	s_getpc_b64 s[4:5]
	s_add_u32 s4, s4, .str.3@rel32@lo+4
	s_addc_u32 s5, s5, .str.3@rel32@hi+12
	s_cmp_lg_u64 s[4:5], 0
	s_cselect_b64 s[12:13], -1, 0
	;; [unrolled: 5-line block ×3, first 2 shown]
	s_getpc_b64 s[4:5]
	s_add_u32 s4, s4, .str.7@rel32@lo+4
	s_addc_u32 s5, s5, .str.7@rel32@hi+12
	s_cmp_lg_u64 s[4:5], 0
	s_mov_b32 s19, 0
	s_cselect_b64 s[16:17], -1, 0
	s_getpc_b64 s[4:5]
	s_add_u32 s4, s4, .str.8@rel32@lo+4
	s_addc_u32 s5, s5, .str.8@rel32@hi+12
	s_mov_b32 s10, s19
	s_mov_b32 s11, s19
	s_cmp_lg_u64 s[4:5], 0
	s_mov_b32 s8, s19
	s_mov_b32 s9, s19
	v_pk_mov_b32 v[16:17], s[10:11], s[10:11] op_sel:[0,1]
	s_cselect_b64 s[20:21], -1, 0
	v_mov_b32_e32 v4, 33
	s_movk_i32 s33, 0xff1f
	s_movk_i32 s60, 0xff1d
	v_mov_b32_e32 v8, 2
	v_mov_b32_e32 v9, 1
	;; [unrolled: 1-line block ×6, first 2 shown]
	v_pk_mov_b32 v[14:15], s[8:9], s[8:9] op_sel:[0,1]
	s_mov_b32 s18, s19
	s_branch .LBB5_278
.LBB5_276:                              ;   in Loop: Header=BB5_278 Depth=1
	s_or_b64 exec, exec, s[24:25]
.LBB5_277:                              ;   in Loop: Header=BB5_278 Depth=1
	global_load_dword v33, v3, s[36:37]
	s_add_i32 s18, s18, 1
	s_waitcnt vmcnt(0)
	v_cmp_ge_i32_e32 vcc, s18, v33
	s_cbranch_vccnz .LBB5_1594
.LBB5_278:                              ; =>This Loop Header: Depth=1
                                        ;     Child Loop BB5_281 Depth 2
                                        ;     Child Loop BB5_289 Depth 2
	;; [unrolled: 1-line block ×9, first 2 shown]
                                        ;       Child Loop BB5_310 Depth 3
                                        ;       Child Loop BB5_317 Depth 3
	;; [unrolled: 1-line block ×11, first 2 shown]
                                        ;     Child Loop BB5_420 Depth 2
                                        ;     Child Loop BB5_428 Depth 2
	;; [unrolled: 1-line block ×13, first 2 shown]
                                        ;       Child Loop BB5_760 Depth 3
                                        ;       Child Loop BB5_767 Depth 3
	;; [unrolled: 1-line block ×11, first 2 shown]
                                        ;     Child Loop BB5_447 Depth 2
                                        ;     Child Loop BB5_455 Depth 2
	;; [unrolled: 1-line block ×9, first 2 shown]
                                        ;       Child Loop BB5_476 Depth 3
                                        ;       Child Loop BB5_483 Depth 3
	;; [unrolled: 1-line block ×11, first 2 shown]
                                        ;     Child Loop BB5_586 Depth 2
                                        ;     Child Loop BB5_677 Depth 2
	;; [unrolled: 1-line block ×6, first 2 shown]
                                        ;       Child Loop BB5_594 Depth 3
                                        ;       Child Loop BB5_601 Depth 3
	;; [unrolled: 1-line block ×11, first 2 shown]
                                        ;     Child Loop BB5_704 Depth 2
                                        ;     Child Loop BB5_712 Depth 2
	;; [unrolled: 1-line block ×13, first 2 shown]
                                        ;       Child Loop BB5_1184 Depth 3
                                        ;       Child Loop BB5_1191 Depth 3
	;; [unrolled: 1-line block ×11, first 2 shown]
                                        ;     Child Loop BB5_871 Depth 2
                                        ;     Child Loop BB5_879 Depth 2
	;; [unrolled: 1-line block ×9, first 2 shown]
                                        ;       Child Loop BB5_900 Depth 3
                                        ;       Child Loop BB5_907 Depth 3
                                        ;       Child Loop BB5_915 Depth 3
                                        ;       Child Loop BB5_923 Depth 3
                                        ;       Child Loop BB5_931 Depth 3
                                        ;       Child Loop BB5_939 Depth 3
                                        ;       Child Loop BB5_947 Depth 3
                                        ;       Child Loop BB5_955 Depth 3
                                        ;       Child Loop BB5_963 Depth 3
                                        ;       Child Loop BB5_972 Depth 3
                                        ;       Child Loop BB5_977 Depth 3
                                        ;     Child Loop BB5_1010 Depth 2
                                        ;     Child Loop BB5_1101 Depth 2
	;; [unrolled: 1-line block ×6, first 2 shown]
                                        ;       Child Loop BB5_1018 Depth 3
                                        ;       Child Loop BB5_1025 Depth 3
	;; [unrolled: 1-line block ×11, first 2 shown]
                                        ;     Child Loop BB5_1128 Depth 2
                                        ;     Child Loop BB5_1136 Depth 2
	;; [unrolled: 1-line block ×13, first 2 shown]
                                        ;       Child Loop BB5_1323 Depth 3
                                        ;       Child Loop BB5_1330 Depth 3
	;; [unrolled: 1-line block ×11, first 2 shown]
                                        ;     Child Loop BB5_1433 Depth 2
                                        ;     Child Loop BB5_1441 Depth 2
                                        ;     Child Loop BB5_1450 Depth 2
                                        ;     Child Loop BB5_1455 Depth 2
                                        ;     Child Loop BB5_1459 Depth 2
                                        ;     Child Loop BB5_1467 Depth 2
                                        ;     Child Loop BB5_1476 Depth 2
                                        ;     Child Loop BB5_1481 Depth 2
                                        ;     Child Loop BB5_1571 Depth 2
                                        ;     Child Loop BB5_1579 Depth 2
                                        ;     Child Loop BB5_1588 Depth 2
                                        ;     Child Loop BB5_1593 Depth 2
                                        ;     Child Loop BB5_1485 Depth 2
                                        ;       Child Loop BB5_1488 Depth 3
                                        ;       Child Loop BB5_1495 Depth 3
	;; [unrolled: 1-line block ×11, first 2 shown]
	v_readfirstlane_b32 s4, v51
	v_cmp_eq_u32_e64 s[4:5], s4, v51
	v_pk_mov_b32 v[0:1], 0, 0
	s_and_saveexec_b64 s[22:23], s[4:5]
	s_cbranch_execz .LBB5_284
; %bb.279:                              ;   in Loop: Header=BB5_278 Depth=1
	global_load_dwordx2 v[20:21], v3, s[34:35] offset:24 glc
	s_waitcnt vmcnt(0)
	buffer_invl2
	buffer_wbinvl1_vol
	global_load_dwordx2 v[0:1], v3, s[34:35] offset:40
	global_load_dwordx2 v[6:7], v3, s[34:35]
	s_waitcnt vmcnt(1)
	v_and_b32_e32 v0, v0, v20
	v_and_b32_e32 v1, v1, v21
	v_mul_lo_u32 v1, v1, 24
	v_mul_hi_u32 v2, v0, 24
	v_mul_lo_u32 v0, v0, 24
	v_add_u32_e32 v1, v2, v1
	s_waitcnt vmcnt(0)
	v_add_co_u32_e32 v0, vcc, v6, v0
	v_addc_co_u32_e32 v1, vcc, v7, v1, vcc
	global_load_dwordx2 v[18:19], v[0:1], off glc
	s_waitcnt vmcnt(0)
	global_atomic_cmpswap_x2 v[0:1], v3, v[18:21], s[34:35] offset:24 glc
	s_waitcnt vmcnt(0)
	buffer_invl2
	buffer_wbinvl1_vol
	v_cmp_ne_u64_e32 vcc, v[0:1], v[20:21]
	s_and_saveexec_b64 s[24:25], vcc
	s_cbranch_execz .LBB5_283
; %bb.280:                              ;   in Loop: Header=BB5_278 Depth=1
	s_mov_b64 s[28:29], 0
.LBB5_281:                              ;   Parent Loop BB5_278 Depth=1
                                        ; =>  This Inner Loop Header: Depth=2
	s_sleep 1
	global_load_dwordx2 v[6:7], v3, s[34:35] offset:40
	global_load_dwordx2 v[18:19], v3, s[34:35]
	v_pk_mov_b32 v[20:21], v[0:1], v[0:1] op_sel:[0,1]
	s_waitcnt vmcnt(1)
	v_and_b32_e32 v0, v6, v20
	s_waitcnt vmcnt(0)
	v_mad_u64_u32 v[0:1], s[30:31], v0, 24, v[18:19]
	v_and_b32_e32 v5, v7, v21
	v_mov_b32_e32 v2, v1
	v_mad_u64_u32 v[6:7], s[30:31], v5, 24, v[2:3]
	v_mov_b32_e32 v1, v6
	global_load_dwordx2 v[18:19], v[0:1], off glc
	s_waitcnt vmcnt(0)
	global_atomic_cmpswap_x2 v[0:1], v3, v[18:21], s[34:35] offset:24 glc
	s_waitcnt vmcnt(0)
	buffer_invl2
	buffer_wbinvl1_vol
	v_cmp_eq_u64_e32 vcc, v[0:1], v[20:21]
	s_or_b64 s[28:29], vcc, s[28:29]
	s_andn2_b64 exec, exec, s[28:29]
	s_cbranch_execnz .LBB5_281
; %bb.282:                              ;   in Loop: Header=BB5_278 Depth=1
	s_or_b64 exec, exec, s[28:29]
.LBB5_283:                              ;   in Loop: Header=BB5_278 Depth=1
	s_or_b64 exec, exec, s[24:25]
.LBB5_284:                              ;   in Loop: Header=BB5_278 Depth=1
	s_or_b64 exec, exec, s[22:23]
	global_load_dwordx2 v[6:7], v3, s[34:35] offset:40
	global_load_dwordx4 v[18:21], v3, s[34:35]
	v_readfirstlane_b32 s22, v0
	v_readfirstlane_b32 s23, v1
	s_mov_b64 s[24:25], exec
	s_waitcnt vmcnt(1)
	v_readfirstlane_b32 s28, v6
	v_readfirstlane_b32 s29, v7
	s_and_b64 s[28:29], s[22:23], s[28:29]
	s_mul_i32 s30, s29, 24
	s_mul_hi_u32 s31, s28, 24
	s_mul_i32 s52, s28, 24
	s_add_i32 s30, s31, s30
	v_mov_b32_e32 v1, s30
	s_waitcnt vmcnt(0)
	v_add_co_u32_e32 v0, vcc, s52, v18
	v_addc_co_u32_e32 v1, vcc, v19, v1, vcc
	s_and_saveexec_b64 s[30:31], s[4:5]
	s_cbranch_execz .LBB5_286
; %bb.285:                              ;   in Loop: Header=BB5_278 Depth=1
	v_pk_mov_b32 v[6:7], s[24:25], s[24:25] op_sel:[0,1]
	global_store_dwordx4 v[0:1], v[6:9], off offset:8
.LBB5_286:                              ;   in Loop: Header=BB5_278 Depth=1
	s_or_b64 exec, exec, s[30:31]
	s_lshl_b64 s[24:25], s[28:29], 12
	v_mov_b32_e32 v2, s25
	v_add_co_u32_e32 v6, vcc, s24, v20
	v_addc_co_u32_e32 v5, vcc, v21, v2, vcc
	v_readfirstlane_b32 s24, v6
	v_readfirstlane_b32 s25, v5
	s_nop 4
	global_store_dwordx4 v50, v[10:13], s[24:25]
	global_store_dwordx4 v50, v[14:17], s[24:25] offset:16
	global_store_dwordx4 v50, v[14:17], s[24:25] offset:32
	;; [unrolled: 1-line block ×3, first 2 shown]
	s_and_saveexec_b64 s[24:25], s[4:5]
	s_cbranch_execz .LBB5_294
; %bb.287:                              ;   in Loop: Header=BB5_278 Depth=1
	global_load_dwordx2 v[26:27], v3, s[34:35] offset:32 glc
	global_load_dwordx2 v[20:21], v3, s[34:35] offset:40
	v_mov_b32_e32 v24, s22
	v_mov_b32_e32 v25, s23
	s_waitcnt vmcnt(0)
	v_readfirstlane_b32 s28, v20
	v_readfirstlane_b32 s29, v21
	s_and_b64 s[28:29], s[28:29], s[22:23]
	s_mul_i32 s29, s29, 24
	s_mul_hi_u32 s30, s28, 24
	s_mul_i32 s28, s28, 24
	s_add_i32 s29, s30, s29
	v_mov_b32_e32 v2, s29
	v_add_co_u32_e32 v22, vcc, s28, v18
	v_addc_co_u32_e32 v23, vcc, v19, v2, vcc
	global_store_dwordx2 v[22:23], v[26:27], off
	buffer_wbl2
	s_waitcnt vmcnt(0)
	global_atomic_cmpswap_x2 v[20:21], v3, v[24:27], s[34:35] offset:32 glc
	s_waitcnt vmcnt(0)
	v_cmp_ne_u64_e32 vcc, v[20:21], v[26:27]
	s_and_saveexec_b64 s[28:29], vcc
	s_cbranch_execz .LBB5_290
; %bb.288:                              ;   in Loop: Header=BB5_278 Depth=1
	s_mov_b64 s[30:31], 0
.LBB5_289:                              ;   Parent Loop BB5_278 Depth=1
                                        ; =>  This Inner Loop Header: Depth=2
	s_sleep 1
	global_store_dwordx2 v[22:23], v[20:21], off
	v_mov_b32_e32 v18, s22
	v_mov_b32_e32 v19, s23
	buffer_wbl2
	s_waitcnt vmcnt(0)
	global_atomic_cmpswap_x2 v[18:19], v3, v[18:21], s[34:35] offset:32 glc
	s_waitcnt vmcnt(0)
	v_cmp_eq_u64_e32 vcc, v[18:19], v[20:21]
	s_or_b64 s[30:31], vcc, s[30:31]
	v_pk_mov_b32 v[20:21], v[18:19], v[18:19] op_sel:[0,1]
	s_andn2_b64 exec, exec, s[30:31]
	s_cbranch_execnz .LBB5_289
.LBB5_290:                              ;   in Loop: Header=BB5_278 Depth=1
	s_or_b64 exec, exec, s[28:29]
	global_load_dwordx2 v[18:19], v3, s[34:35] offset:16
	s_mov_b64 s[30:31], exec
	v_mbcnt_lo_u32_b32 v2, s30, 0
	v_mbcnt_hi_u32_b32 v2, s31, v2
	v_cmp_eq_u32_e32 vcc, 0, v2
	s_and_saveexec_b64 s[28:29], vcc
	s_cbranch_execz .LBB5_292
; %bb.291:                              ;   in Loop: Header=BB5_278 Depth=1
	s_bcnt1_i32_b64 s30, s[30:31]
	v_mov_b32_e32 v2, s30
	buffer_wbl2
	s_waitcnt vmcnt(0)
	global_atomic_add_x2 v[18:19], v[2:3], off offset:8
.LBB5_292:                              ;   in Loop: Header=BB5_278 Depth=1
	s_or_b64 exec, exec, s[28:29]
	s_waitcnt vmcnt(0)
	global_load_dwordx2 v[20:21], v[18:19], off offset:16
	s_waitcnt vmcnt(0)
	v_cmp_eq_u64_e32 vcc, 0, v[20:21]
	s_cbranch_vccnz .LBB5_294
; %bb.293:                              ;   in Loop: Header=BB5_278 Depth=1
	global_load_dword v2, v[18:19], off offset:24
	buffer_wbl2
	s_waitcnt vmcnt(0)
	global_store_dwordx2 v[20:21], v[2:3], off
	v_and_b32_e32 v2, 0xffffff, v2
	v_readfirstlane_b32 m0, v2
	s_sendmsg sendmsg(MSG_INTERRUPT)
.LBB5_294:                              ;   in Loop: Header=BB5_278 Depth=1
	s_or_b64 exec, exec, s[24:25]
	v_add_co_u32_e32 v6, vcc, v6, v50
	v_addc_co_u32_e32 v7, vcc, 0, v5, vcc
	s_branch .LBB5_298
.LBB5_295:                              ;   in Loop: Header=BB5_298 Depth=2
	s_or_b64 exec, exec, s[24:25]
	v_readfirstlane_b32 s24, v2
	s_cmp_eq_u32 s24, 0
	s_cbranch_scc1 .LBB5_297
; %bb.296:                              ;   in Loop: Header=BB5_298 Depth=2
	s_sleep 1
	s_cbranch_execnz .LBB5_298
	s_branch .LBB5_300
.LBB5_297:                              ;   in Loop: Header=BB5_278 Depth=1
	s_branch .LBB5_300
.LBB5_298:                              ;   Parent Loop BB5_278 Depth=1
                                        ; =>  This Inner Loop Header: Depth=2
	v_mov_b32_e32 v2, 1
	s_and_saveexec_b64 s[24:25], s[4:5]
	s_cbranch_execz .LBB5_295
; %bb.299:                              ;   in Loop: Header=BB5_298 Depth=2
	global_load_dword v2, v[0:1], off offset:20 glc
	s_waitcnt vmcnt(0)
	buffer_invl2
	buffer_wbinvl1_vol
	v_and_b32_e32 v2, 1, v2
	s_branch .LBB5_295
.LBB5_300:                              ;   in Loop: Header=BB5_278 Depth=1
	global_load_dwordx2 v[0:1], v[6:7], off
	s_and_saveexec_b64 s[24:25], s[4:5]
	s_cbranch_execz .LBB5_304
; %bb.301:                              ;   in Loop: Header=BB5_278 Depth=1
	global_load_dwordx2 v[6:7], v3, s[34:35] offset:40
	global_load_dwordx2 v[22:23], v3, s[34:35] offset:24 glc
	global_load_dwordx2 v[24:25], v3, s[34:35]
	v_mov_b32_e32 v2, s23
	s_waitcnt vmcnt(2)
	v_add_co_u32_e32 v5, vcc, 1, v6
	v_addc_co_u32_e32 v21, vcc, 0, v7, vcc
	v_add_co_u32_e32 v18, vcc, s22, v5
	v_addc_co_u32_e32 v19, vcc, v21, v2, vcc
	v_cmp_eq_u64_e32 vcc, 0, v[18:19]
	v_cndmask_b32_e32 v19, v19, v21, vcc
	v_cndmask_b32_e32 v18, v18, v5, vcc
	v_and_b32_e32 v2, v19, v7
	v_and_b32_e32 v5, v18, v6
	v_mul_lo_u32 v2, v2, 24
	v_mul_hi_u32 v6, v5, 24
	v_mul_lo_u32 v5, v5, 24
	v_add_u32_e32 v2, v6, v2
	s_waitcnt vmcnt(0)
	v_add_co_u32_e32 v6, vcc, v24, v5
	v_addc_co_u32_e32 v7, vcc, v25, v2, vcc
	v_mov_b32_e32 v20, v22
	global_store_dwordx2 v[6:7], v[22:23], off
	v_mov_b32_e32 v21, v23
	buffer_wbl2
	s_waitcnt vmcnt(0)
	global_atomic_cmpswap_x2 v[20:21], v3, v[18:21], s[34:35] offset:24 glc
	s_waitcnt vmcnt(0)
	v_cmp_ne_u64_e32 vcc, v[20:21], v[22:23]
	s_and_b64 exec, exec, vcc
	s_cbranch_execz .LBB5_304
; %bb.302:                              ;   in Loop: Header=BB5_278 Depth=1
	s_mov_b64 s[4:5], 0
.LBB5_303:                              ;   Parent Loop BB5_278 Depth=1
                                        ; =>  This Inner Loop Header: Depth=2
	s_sleep 1
	global_store_dwordx2 v[6:7], v[20:21], off
	buffer_wbl2
	s_waitcnt vmcnt(0)
	global_atomic_cmpswap_x2 v[22:23], v3, v[18:21], s[34:35] offset:24 glc
	s_waitcnt vmcnt(0)
	v_cmp_eq_u64_e32 vcc, v[22:23], v[20:21]
	s_or_b64 s[4:5], vcc, s[4:5]
	v_pk_mov_b32 v[20:21], v[22:23], v[22:23] op_sel:[0,1]
	s_andn2_b64 exec, exec, s[4:5]
	s_cbranch_execnz .LBB5_303
.LBB5_304:                              ;   in Loop: Header=BB5_278 Depth=1
	s_or_b64 exec, exec, s[24:25]
	s_and_b64 vcc, exec, s[6:7]
	s_cbranch_vccz .LBB5_389
; %bb.305:                              ;   in Loop: Header=BB5_278 Depth=1
	s_waitcnt vmcnt(0)
	v_and_b32_e32 v38, 2, v0
	v_and_b32_e32 v18, -3, v0
	v_mov_b32_e32 v19, v1
	s_mov_b64 s[24:25], 4
	s_getpc_b64 s[22:23]
	s_add_u32 s22, s22, .str.2@rel32@lo+4
	s_addc_u32 s23, s23, .str.2@rel32@hi+12
	s_branch .LBB5_307
.LBB5_306:                              ;   in Loop: Header=BB5_307 Depth=2
	s_or_b64 exec, exec, s[52:53]
	s_sub_u32 s24, s24, s28
	s_subb_u32 s25, s25, s29
	s_add_u32 s22, s22, s28
	s_addc_u32 s23, s23, s29
	s_cmp_lg_u64 s[24:25], 0
	s_cbranch_scc0 .LBB5_388
.LBB5_307:                              ;   Parent Loop BB5_278 Depth=1
                                        ; =>  This Loop Header: Depth=2
                                        ;       Child Loop BB5_310 Depth 3
                                        ;       Child Loop BB5_317 Depth 3
	;; [unrolled: 1-line block ×11, first 2 shown]
	v_cmp_lt_u64_e64 s[4:5], s[24:25], 56
	s_and_b64 s[4:5], s[4:5], exec
	v_cmp_gt_u64_e64 s[4:5], s[24:25], 7
	s_cselect_b32 s29, s25, 0
	s_cselect_b32 s28, s24, 56
	s_and_b64 vcc, exec, s[4:5]
	s_cbranch_vccnz .LBB5_312
; %bb.308:                              ;   in Loop: Header=BB5_307 Depth=2
	s_mov_b64 s[4:5], 0
	s_cmp_eq_u64 s[24:25], 0
	s_waitcnt vmcnt(0)
	v_pk_mov_b32 v[20:21], 0, 0
	s_cbranch_scc1 .LBB5_311
; %bb.309:                              ;   in Loop: Header=BB5_307 Depth=2
	s_lshl_b64 s[30:31], s[28:29], 3
	s_mov_b64 s[52:53], 0
	v_pk_mov_b32 v[20:21], 0, 0
	s_mov_b64 s[54:55], s[22:23]
.LBB5_310:                              ;   Parent Loop BB5_278 Depth=1
                                        ;     Parent Loop BB5_307 Depth=2
                                        ; =>    This Inner Loop Header: Depth=3
	global_load_ubyte v2, v3, s[54:55]
	s_waitcnt vmcnt(0)
	v_and_b32_e32 v2, 0xffff, v2
	v_lshlrev_b64 v[6:7], s52, v[2:3]
	s_add_u32 s52, s52, 8
	s_addc_u32 s53, s53, 0
	s_add_u32 s54, s54, 1
	s_addc_u32 s55, s55, 0
	v_or_b32_e32 v20, v6, v20
	s_cmp_lg_u32 s30, s52
	v_or_b32_e32 v21, v7, v21
	s_cbranch_scc1 .LBB5_310
.LBB5_311:                              ;   in Loop: Header=BB5_307 Depth=2
	s_mov_b32 s54, 0
	s_andn2_b64 vcc, exec, s[4:5]
	s_mov_b64 s[4:5], s[22:23]
	s_cbranch_vccz .LBB5_313
	s_branch .LBB5_314
.LBB5_312:                              ;   in Loop: Header=BB5_307 Depth=2
                                        ; implicit-def: $vgpr20_vgpr21
                                        ; implicit-def: $sgpr54
	s_mov_b64 s[4:5], s[22:23]
.LBB5_313:                              ;   in Loop: Header=BB5_307 Depth=2
	global_load_dwordx2 v[20:21], v3, s[22:23]
	s_add_i32 s54, s28, -8
	s_add_u32 s4, s22, 8
	s_addc_u32 s5, s23, 0
.LBB5_314:                              ;   in Loop: Header=BB5_307 Depth=2
	s_cmp_gt_u32 s54, 7
	s_cbranch_scc1 .LBB5_318
; %bb.315:                              ;   in Loop: Header=BB5_307 Depth=2
	s_cmp_eq_u32 s54, 0
	s_cbranch_scc1 .LBB5_319
; %bb.316:                              ;   in Loop: Header=BB5_307 Depth=2
	s_mov_b64 s[30:31], 0
	v_pk_mov_b32 v[22:23], 0, 0
	s_mov_b64 s[52:53], 0
.LBB5_317:                              ;   Parent Loop BB5_278 Depth=1
                                        ;     Parent Loop BB5_307 Depth=2
                                        ; =>    This Inner Loop Header: Depth=3
	s_add_u32 s56, s4, s52
	s_addc_u32 s57, s5, s53
	global_load_ubyte v2, v3, s[56:57]
	s_add_u32 s52, s52, 1
	s_addc_u32 s53, s53, 0
	s_waitcnt vmcnt(0)
	v_and_b32_e32 v2, 0xffff, v2
	v_lshlrev_b64 v[6:7], s30, v[2:3]
	s_add_u32 s30, s30, 8
	s_addc_u32 s31, s31, 0
	v_or_b32_e32 v22, v6, v22
	s_cmp_lg_u32 s54, s52
	v_or_b32_e32 v23, v7, v23
	s_cbranch_scc1 .LBB5_317
	s_branch .LBB5_320
.LBB5_318:                              ;   in Loop: Header=BB5_307 Depth=2
                                        ; implicit-def: $vgpr22_vgpr23
                                        ; implicit-def: $sgpr55
	s_branch .LBB5_321
.LBB5_319:                              ;   in Loop: Header=BB5_307 Depth=2
	v_pk_mov_b32 v[22:23], 0, 0
.LBB5_320:                              ;   in Loop: Header=BB5_307 Depth=2
	s_mov_b32 s55, 0
	s_cbranch_execnz .LBB5_322
.LBB5_321:                              ;   in Loop: Header=BB5_307 Depth=2
	global_load_dwordx2 v[22:23], v3, s[4:5]
	s_add_i32 s55, s54, -8
	s_add_u32 s4, s4, 8
	s_addc_u32 s5, s5, 0
.LBB5_322:                              ;   in Loop: Header=BB5_307 Depth=2
	s_cmp_gt_u32 s55, 7
	s_cbranch_scc1 .LBB5_326
; %bb.323:                              ;   in Loop: Header=BB5_307 Depth=2
	s_cmp_eq_u32 s55, 0
	s_cbranch_scc1 .LBB5_327
; %bb.324:                              ;   in Loop: Header=BB5_307 Depth=2
	s_mov_b64 s[30:31], 0
	v_pk_mov_b32 v[24:25], 0, 0
	s_mov_b64 s[52:53], 0
.LBB5_325:                              ;   Parent Loop BB5_278 Depth=1
                                        ;     Parent Loop BB5_307 Depth=2
                                        ; =>    This Inner Loop Header: Depth=3
	s_add_u32 s56, s4, s52
	s_addc_u32 s57, s5, s53
	global_load_ubyte v2, v3, s[56:57]
	s_add_u32 s52, s52, 1
	s_addc_u32 s53, s53, 0
	s_waitcnt vmcnt(0)
	v_and_b32_e32 v2, 0xffff, v2
	v_lshlrev_b64 v[6:7], s30, v[2:3]
	s_add_u32 s30, s30, 8
	s_addc_u32 s31, s31, 0
	v_or_b32_e32 v24, v6, v24
	s_cmp_lg_u32 s55, s52
	v_or_b32_e32 v25, v7, v25
	s_cbranch_scc1 .LBB5_325
	s_branch .LBB5_328
.LBB5_326:                              ;   in Loop: Header=BB5_307 Depth=2
                                        ; implicit-def: $sgpr54
	s_branch .LBB5_329
.LBB5_327:                              ;   in Loop: Header=BB5_307 Depth=2
	v_pk_mov_b32 v[24:25], 0, 0
.LBB5_328:                              ;   in Loop: Header=BB5_307 Depth=2
	s_mov_b32 s54, 0
	s_cbranch_execnz .LBB5_330
.LBB5_329:                              ;   in Loop: Header=BB5_307 Depth=2
	global_load_dwordx2 v[24:25], v3, s[4:5]
	s_add_i32 s54, s55, -8
	s_add_u32 s4, s4, 8
	s_addc_u32 s5, s5, 0
.LBB5_330:                              ;   in Loop: Header=BB5_307 Depth=2
	s_cmp_gt_u32 s54, 7
	s_cbranch_scc1 .LBB5_334
; %bb.331:                              ;   in Loop: Header=BB5_307 Depth=2
	s_cmp_eq_u32 s54, 0
	s_cbranch_scc1 .LBB5_335
; %bb.332:                              ;   in Loop: Header=BB5_307 Depth=2
	s_mov_b64 s[30:31], 0
	v_pk_mov_b32 v[26:27], 0, 0
	s_mov_b64 s[52:53], 0
.LBB5_333:                              ;   Parent Loop BB5_278 Depth=1
                                        ;     Parent Loop BB5_307 Depth=2
                                        ; =>    This Inner Loop Header: Depth=3
	s_add_u32 s56, s4, s52
	s_addc_u32 s57, s5, s53
	global_load_ubyte v2, v3, s[56:57]
	s_add_u32 s52, s52, 1
	s_addc_u32 s53, s53, 0
	s_waitcnt vmcnt(0)
	v_and_b32_e32 v2, 0xffff, v2
	v_lshlrev_b64 v[6:7], s30, v[2:3]
	s_add_u32 s30, s30, 8
	s_addc_u32 s31, s31, 0
	v_or_b32_e32 v26, v6, v26
	s_cmp_lg_u32 s54, s52
	v_or_b32_e32 v27, v7, v27
	s_cbranch_scc1 .LBB5_333
	s_branch .LBB5_336
.LBB5_334:                              ;   in Loop: Header=BB5_307 Depth=2
                                        ; implicit-def: $vgpr26_vgpr27
                                        ; implicit-def: $sgpr55
	s_branch .LBB5_337
.LBB5_335:                              ;   in Loop: Header=BB5_307 Depth=2
	v_pk_mov_b32 v[26:27], 0, 0
.LBB5_336:                              ;   in Loop: Header=BB5_307 Depth=2
	s_mov_b32 s55, 0
	s_cbranch_execnz .LBB5_338
.LBB5_337:                              ;   in Loop: Header=BB5_307 Depth=2
	global_load_dwordx2 v[26:27], v3, s[4:5]
	s_add_i32 s55, s54, -8
	s_add_u32 s4, s4, 8
	s_addc_u32 s5, s5, 0
.LBB5_338:                              ;   in Loop: Header=BB5_307 Depth=2
	s_cmp_gt_u32 s55, 7
	s_cbranch_scc1 .LBB5_342
; %bb.339:                              ;   in Loop: Header=BB5_307 Depth=2
	s_cmp_eq_u32 s55, 0
	s_cbranch_scc1 .LBB5_343
; %bb.340:                              ;   in Loop: Header=BB5_307 Depth=2
	s_mov_b64 s[30:31], 0
	v_pk_mov_b32 v[28:29], 0, 0
	s_mov_b64 s[52:53], 0
.LBB5_341:                              ;   Parent Loop BB5_278 Depth=1
                                        ;     Parent Loop BB5_307 Depth=2
                                        ; =>    This Inner Loop Header: Depth=3
	s_add_u32 s56, s4, s52
	s_addc_u32 s57, s5, s53
	global_load_ubyte v2, v3, s[56:57]
	s_add_u32 s52, s52, 1
	s_addc_u32 s53, s53, 0
	s_waitcnt vmcnt(0)
	v_and_b32_e32 v2, 0xffff, v2
	v_lshlrev_b64 v[6:7], s30, v[2:3]
	s_add_u32 s30, s30, 8
	s_addc_u32 s31, s31, 0
	v_or_b32_e32 v28, v6, v28
	s_cmp_lg_u32 s55, s52
	v_or_b32_e32 v29, v7, v29
	s_cbranch_scc1 .LBB5_341
	s_branch .LBB5_344
.LBB5_342:                              ;   in Loop: Header=BB5_307 Depth=2
                                        ; implicit-def: $sgpr54
	s_branch .LBB5_345
.LBB5_343:                              ;   in Loop: Header=BB5_307 Depth=2
	v_pk_mov_b32 v[28:29], 0, 0
.LBB5_344:                              ;   in Loop: Header=BB5_307 Depth=2
	s_mov_b32 s54, 0
	s_cbranch_execnz .LBB5_346
.LBB5_345:                              ;   in Loop: Header=BB5_307 Depth=2
	global_load_dwordx2 v[28:29], v3, s[4:5]
	s_add_i32 s54, s55, -8
	s_add_u32 s4, s4, 8
	s_addc_u32 s5, s5, 0
.LBB5_346:                              ;   in Loop: Header=BB5_307 Depth=2
	s_cmp_gt_u32 s54, 7
	s_cbranch_scc1 .LBB5_350
; %bb.347:                              ;   in Loop: Header=BB5_307 Depth=2
	s_cmp_eq_u32 s54, 0
	s_cbranch_scc1 .LBB5_351
; %bb.348:                              ;   in Loop: Header=BB5_307 Depth=2
	s_mov_b64 s[30:31], 0
	v_pk_mov_b32 v[30:31], 0, 0
	s_mov_b64 s[52:53], 0
.LBB5_349:                              ;   Parent Loop BB5_278 Depth=1
                                        ;     Parent Loop BB5_307 Depth=2
                                        ; =>    This Inner Loop Header: Depth=3
	s_add_u32 s56, s4, s52
	s_addc_u32 s57, s5, s53
	global_load_ubyte v2, v3, s[56:57]
	s_add_u32 s52, s52, 1
	s_addc_u32 s53, s53, 0
	s_waitcnt vmcnt(0)
	v_and_b32_e32 v2, 0xffff, v2
	v_lshlrev_b64 v[6:7], s30, v[2:3]
	s_add_u32 s30, s30, 8
	s_addc_u32 s31, s31, 0
	v_or_b32_e32 v30, v6, v30
	s_cmp_lg_u32 s54, s52
	v_or_b32_e32 v31, v7, v31
	s_cbranch_scc1 .LBB5_349
	s_branch .LBB5_352
.LBB5_350:                              ;   in Loop: Header=BB5_307 Depth=2
                                        ; implicit-def: $vgpr30_vgpr31
                                        ; implicit-def: $sgpr55
	s_branch .LBB5_353
.LBB5_351:                              ;   in Loop: Header=BB5_307 Depth=2
	v_pk_mov_b32 v[30:31], 0, 0
.LBB5_352:                              ;   in Loop: Header=BB5_307 Depth=2
	s_mov_b32 s55, 0
	s_cbranch_execnz .LBB5_354
.LBB5_353:                              ;   in Loop: Header=BB5_307 Depth=2
	global_load_dwordx2 v[30:31], v3, s[4:5]
	s_add_i32 s55, s54, -8
	s_add_u32 s4, s4, 8
	s_addc_u32 s5, s5, 0
.LBB5_354:                              ;   in Loop: Header=BB5_307 Depth=2
	s_cmp_gt_u32 s55, 7
	s_cbranch_scc1 .LBB5_358
; %bb.355:                              ;   in Loop: Header=BB5_307 Depth=2
	s_cmp_eq_u32 s55, 0
	s_cbranch_scc1 .LBB5_359
; %bb.356:                              ;   in Loop: Header=BB5_307 Depth=2
	s_mov_b64 s[30:31], 0
	v_pk_mov_b32 v[32:33], 0, 0
	s_mov_b64 s[52:53], s[4:5]
.LBB5_357:                              ;   Parent Loop BB5_278 Depth=1
                                        ;     Parent Loop BB5_307 Depth=2
                                        ; =>    This Inner Loop Header: Depth=3
	global_load_ubyte v2, v3, s[52:53]
	s_add_i32 s55, s55, -1
	s_waitcnt vmcnt(0)
	v_and_b32_e32 v2, 0xffff, v2
	v_lshlrev_b64 v[6:7], s30, v[2:3]
	s_add_u32 s30, s30, 8
	s_addc_u32 s31, s31, 0
	s_add_u32 s52, s52, 1
	s_addc_u32 s53, s53, 0
	v_or_b32_e32 v32, v6, v32
	s_cmp_lg_u32 s55, 0
	v_or_b32_e32 v33, v7, v33
	s_cbranch_scc1 .LBB5_357
	s_branch .LBB5_360
.LBB5_358:                              ;   in Loop: Header=BB5_307 Depth=2
	s_branch .LBB5_361
.LBB5_359:                              ;   in Loop: Header=BB5_307 Depth=2
	v_pk_mov_b32 v[32:33], 0, 0
.LBB5_360:                              ;   in Loop: Header=BB5_307 Depth=2
	s_cbranch_execnz .LBB5_362
.LBB5_361:                              ;   in Loop: Header=BB5_307 Depth=2
	global_load_dwordx2 v[32:33], v3, s[4:5]
.LBB5_362:                              ;   in Loop: Header=BB5_307 Depth=2
	v_readfirstlane_b32 s4, v51
	v_cmp_eq_u32_e64 s[4:5], s4, v51
	v_pk_mov_b32 v[6:7], 0, 0
	s_and_saveexec_b64 s[30:31], s[4:5]
	s_cbranch_execz .LBB5_368
; %bb.363:                              ;   in Loop: Header=BB5_307 Depth=2
	global_load_dwordx2 v[36:37], v3, s[34:35] offset:24 glc
	s_waitcnt vmcnt(0)
	buffer_invl2
	buffer_wbinvl1_vol
	global_load_dwordx2 v[6:7], v3, s[34:35] offset:40
	global_load_dwordx2 v[34:35], v3, s[34:35]
	s_waitcnt vmcnt(1)
	v_and_b32_e32 v2, v6, v36
	v_and_b32_e32 v5, v7, v37
	v_mul_lo_u32 v5, v5, 24
	v_mul_hi_u32 v6, v2, 24
	v_mul_lo_u32 v2, v2, 24
	v_add_u32_e32 v5, v6, v5
	s_waitcnt vmcnt(0)
	v_add_co_u32_e32 v6, vcc, v34, v2
	v_addc_co_u32_e32 v7, vcc, v35, v5, vcc
	global_load_dwordx2 v[34:35], v[6:7], off glc
	s_waitcnt vmcnt(0)
	global_atomic_cmpswap_x2 v[6:7], v3, v[34:37], s[34:35] offset:24 glc
	s_waitcnt vmcnt(0)
	buffer_invl2
	buffer_wbinvl1_vol
	v_cmp_ne_u64_e32 vcc, v[6:7], v[36:37]
	s_and_saveexec_b64 s[52:53], vcc
	s_cbranch_execz .LBB5_367
; %bb.364:                              ;   in Loop: Header=BB5_307 Depth=2
	s_mov_b64 s[54:55], 0
.LBB5_365:                              ;   Parent Loop BB5_278 Depth=1
                                        ;     Parent Loop BB5_307 Depth=2
                                        ; =>    This Inner Loop Header: Depth=3
	s_sleep 1
	global_load_dwordx2 v[34:35], v3, s[34:35] offset:40
	global_load_dwordx2 v[40:41], v3, s[34:35]
	v_pk_mov_b32 v[36:37], v[6:7], v[6:7] op_sel:[0,1]
	s_waitcnt vmcnt(1)
	v_and_b32_e32 v2, v34, v36
	s_waitcnt vmcnt(0)
	v_mad_u64_u32 v[6:7], s[56:57], v2, 24, v[40:41]
	v_and_b32_e32 v5, v35, v37
	v_mov_b32_e32 v2, v7
	v_mad_u64_u32 v[34:35], s[56:57], v5, 24, v[2:3]
	v_mov_b32_e32 v7, v34
	global_load_dwordx2 v[34:35], v[6:7], off glc
	s_waitcnt vmcnt(0)
	global_atomic_cmpswap_x2 v[6:7], v3, v[34:37], s[34:35] offset:24 glc
	s_waitcnt vmcnt(0)
	buffer_invl2
	buffer_wbinvl1_vol
	v_cmp_eq_u64_e32 vcc, v[6:7], v[36:37]
	s_or_b64 s[54:55], vcc, s[54:55]
	s_andn2_b64 exec, exec, s[54:55]
	s_cbranch_execnz .LBB5_365
; %bb.366:                              ;   in Loop: Header=BB5_307 Depth=2
	s_or_b64 exec, exec, s[54:55]
.LBB5_367:                              ;   in Loop: Header=BB5_307 Depth=2
	s_or_b64 exec, exec, s[52:53]
.LBB5_368:                              ;   in Loop: Header=BB5_307 Depth=2
	s_or_b64 exec, exec, s[30:31]
	global_load_dwordx2 v[40:41], v3, s[34:35] offset:40
	global_load_dwordx4 v[34:37], v3, s[34:35]
	v_readfirstlane_b32 s30, v6
	v_readfirstlane_b32 s31, v7
	s_mov_b64 s[52:53], exec
	s_waitcnt vmcnt(1)
	v_readfirstlane_b32 s54, v40
	v_readfirstlane_b32 s55, v41
	s_and_b64 s[54:55], s[30:31], s[54:55]
	s_mul_i32 s56, s55, 24
	s_mul_hi_u32 s57, s54, 24
	s_mul_i32 s58, s54, 24
	s_add_i32 s56, s57, s56
	v_mov_b32_e32 v2, s56
	s_waitcnt vmcnt(0)
	v_add_co_u32_e32 v40, vcc, s58, v34
	v_addc_co_u32_e32 v41, vcc, v35, v2, vcc
	s_and_saveexec_b64 s[56:57], s[4:5]
	s_cbranch_execz .LBB5_370
; %bb.369:                              ;   in Loop: Header=BB5_307 Depth=2
	v_pk_mov_b32 v[6:7], s[52:53], s[52:53] op_sel:[0,1]
	global_store_dwordx4 v[40:41], v[6:9], off offset:8
.LBB5_370:                              ;   in Loop: Header=BB5_307 Depth=2
	s_or_b64 exec, exec, s[56:57]
	s_lshl_b64 s[52:53], s[54:55], 12
	v_mov_b32_e32 v2, s53
	v_add_co_u32_e32 v6, vcc, s52, v36
	v_addc_co_u32_e32 v5, vcc, v37, v2, vcc
	v_or_b32_e32 v2, 0, v19
	v_or_b32_e32 v7, v18, v38
	v_cmp_gt_u64_e64 vcc, s[24:25], 56
	s_lshl_b32 s52, s28, 2
	v_cndmask_b32_e32 v19, v2, v19, vcc
	v_cndmask_b32_e32 v2, v7, v18, vcc
	s_add_i32 s52, s52, 28
	s_and_b32 s52, s52, 0x1e0
	v_and_b32_e32 v2, 0xffffff1f, v2
	v_or_b32_e32 v18, s52, v2
	v_readfirstlane_b32 s52, v6
	v_readfirstlane_b32 s53, v5
	s_nop 4
	global_store_dwordx4 v50, v[18:21], s[52:53]
	global_store_dwordx4 v50, v[22:25], s[52:53] offset:16
	global_store_dwordx4 v50, v[26:29], s[52:53] offset:32
	;; [unrolled: 1-line block ×3, first 2 shown]
	s_and_saveexec_b64 s[52:53], s[4:5]
	s_cbranch_execz .LBB5_378
; %bb.371:                              ;   in Loop: Header=BB5_307 Depth=2
	global_load_dwordx2 v[26:27], v3, s[34:35] offset:32 glc
	global_load_dwordx2 v[18:19], v3, s[34:35] offset:40
	v_mov_b32_e32 v24, s30
	v_mov_b32_e32 v25, s31
	s_waitcnt vmcnt(0)
	v_readfirstlane_b32 s54, v18
	v_readfirstlane_b32 s55, v19
	s_and_b64 s[54:55], s[54:55], s[30:31]
	s_mul_i32 s55, s55, 24
	s_mul_hi_u32 s56, s54, 24
	s_mul_i32 s54, s54, 24
	s_add_i32 s55, s56, s55
	v_mov_b32_e32 v2, s55
	v_add_co_u32_e32 v22, vcc, s54, v34
	v_addc_co_u32_e32 v23, vcc, v35, v2, vcc
	global_store_dwordx2 v[22:23], v[26:27], off
	buffer_wbl2
	s_waitcnt vmcnt(0)
	global_atomic_cmpswap_x2 v[20:21], v3, v[24:27], s[34:35] offset:32 glc
	s_waitcnt vmcnt(0)
	v_cmp_ne_u64_e32 vcc, v[20:21], v[26:27]
	s_and_saveexec_b64 s[54:55], vcc
	s_cbranch_execz .LBB5_374
; %bb.372:                              ;   in Loop: Header=BB5_307 Depth=2
	s_mov_b64 s[56:57], 0
.LBB5_373:                              ;   Parent Loop BB5_278 Depth=1
                                        ;     Parent Loop BB5_307 Depth=2
                                        ; =>    This Inner Loop Header: Depth=3
	s_sleep 1
	global_store_dwordx2 v[22:23], v[20:21], off
	v_mov_b32_e32 v18, s30
	v_mov_b32_e32 v19, s31
	buffer_wbl2
	s_waitcnt vmcnt(0)
	global_atomic_cmpswap_x2 v[18:19], v3, v[18:21], s[34:35] offset:32 glc
	s_waitcnt vmcnt(0)
	v_cmp_eq_u64_e32 vcc, v[18:19], v[20:21]
	s_or_b64 s[56:57], vcc, s[56:57]
	v_pk_mov_b32 v[20:21], v[18:19], v[18:19] op_sel:[0,1]
	s_andn2_b64 exec, exec, s[56:57]
	s_cbranch_execnz .LBB5_373
.LBB5_374:                              ;   in Loop: Header=BB5_307 Depth=2
	s_or_b64 exec, exec, s[54:55]
	global_load_dwordx2 v[18:19], v3, s[34:35] offset:16
	s_mov_b64 s[56:57], exec
	v_mbcnt_lo_u32_b32 v2, s56, 0
	v_mbcnt_hi_u32_b32 v2, s57, v2
	v_cmp_eq_u32_e32 vcc, 0, v2
	s_and_saveexec_b64 s[54:55], vcc
	s_cbranch_execz .LBB5_376
; %bb.375:                              ;   in Loop: Header=BB5_307 Depth=2
	s_bcnt1_i32_b64 s56, s[56:57]
	v_mov_b32_e32 v2, s56
	buffer_wbl2
	s_waitcnt vmcnt(0)
	global_atomic_add_x2 v[18:19], v[2:3], off offset:8
.LBB5_376:                              ;   in Loop: Header=BB5_307 Depth=2
	s_or_b64 exec, exec, s[54:55]
	s_waitcnt vmcnt(0)
	global_load_dwordx2 v[20:21], v[18:19], off offset:16
	s_waitcnt vmcnt(0)
	v_cmp_eq_u64_e32 vcc, 0, v[20:21]
	s_cbranch_vccnz .LBB5_378
; %bb.377:                              ;   in Loop: Header=BB5_307 Depth=2
	global_load_dword v2, v[18:19], off offset:24
	buffer_wbl2
	s_waitcnt vmcnt(0)
	global_store_dwordx2 v[20:21], v[2:3], off
	v_and_b32_e32 v2, 0xffffff, v2
	v_readfirstlane_b32 m0, v2
	s_sendmsg sendmsg(MSG_INTERRUPT)
.LBB5_378:                              ;   in Loop: Header=BB5_307 Depth=2
	s_or_b64 exec, exec, s[52:53]
	v_add_co_u32_e32 v6, vcc, v6, v50
	v_addc_co_u32_e32 v7, vcc, 0, v5, vcc
	s_branch .LBB5_382
.LBB5_379:                              ;   in Loop: Header=BB5_382 Depth=3
	s_or_b64 exec, exec, s[52:53]
	v_readfirstlane_b32 s52, v2
	s_cmp_eq_u32 s52, 0
	s_cbranch_scc1 .LBB5_381
; %bb.380:                              ;   in Loop: Header=BB5_382 Depth=3
	s_sleep 1
	s_cbranch_execnz .LBB5_382
	s_branch .LBB5_384
.LBB5_381:                              ;   in Loop: Header=BB5_307 Depth=2
	s_branch .LBB5_384
.LBB5_382:                              ;   Parent Loop BB5_278 Depth=1
                                        ;     Parent Loop BB5_307 Depth=2
                                        ; =>    This Inner Loop Header: Depth=3
	v_mov_b32_e32 v2, 1
	s_and_saveexec_b64 s[52:53], s[4:5]
	s_cbranch_execz .LBB5_379
; %bb.383:                              ;   in Loop: Header=BB5_382 Depth=3
	global_load_dword v2, v[40:41], off offset:20 glc
	s_waitcnt vmcnt(0)
	buffer_invl2
	buffer_wbinvl1_vol
	v_and_b32_e32 v2, 1, v2
	s_branch .LBB5_379
.LBB5_384:                              ;   in Loop: Header=BB5_307 Depth=2
	global_load_dwordx4 v[18:21], v[6:7], off
	s_and_saveexec_b64 s[52:53], s[4:5]
	s_cbranch_execz .LBB5_306
; %bb.385:                              ;   in Loop: Header=BB5_307 Depth=2
	global_load_dwordx2 v[6:7], v3, s[34:35] offset:40
	global_load_dwordx2 v[24:25], v3, s[34:35] offset:24 glc
	global_load_dwordx2 v[26:27], v3, s[34:35]
	v_mov_b32_e32 v2, s31
	s_waitcnt vmcnt(2)
	v_add_co_u32_e32 v5, vcc, 1, v6
	v_addc_co_u32_e32 v23, vcc, 0, v7, vcc
	v_add_co_u32_e32 v20, vcc, s30, v5
	v_addc_co_u32_e32 v21, vcc, v23, v2, vcc
	v_cmp_eq_u64_e32 vcc, 0, v[20:21]
	v_cndmask_b32_e32 v21, v21, v23, vcc
	v_cndmask_b32_e32 v20, v20, v5, vcc
	v_and_b32_e32 v2, v21, v7
	v_and_b32_e32 v5, v20, v6
	v_mul_lo_u32 v2, v2, 24
	v_mul_hi_u32 v6, v5, 24
	v_mul_lo_u32 v5, v5, 24
	v_add_u32_e32 v2, v6, v2
	s_waitcnt vmcnt(0)
	v_add_co_u32_e32 v6, vcc, v26, v5
	v_addc_co_u32_e32 v7, vcc, v27, v2, vcc
	v_mov_b32_e32 v22, v24
	global_store_dwordx2 v[6:7], v[24:25], off
	v_mov_b32_e32 v23, v25
	buffer_wbl2
	s_waitcnt vmcnt(0)
	global_atomic_cmpswap_x2 v[22:23], v3, v[20:23], s[34:35] offset:24 glc
	s_waitcnt vmcnt(0)
	v_cmp_ne_u64_e32 vcc, v[22:23], v[24:25]
	s_and_b64 exec, exec, vcc
	s_cbranch_execz .LBB5_306
; %bb.386:                              ;   in Loop: Header=BB5_307 Depth=2
	s_mov_b64 s[4:5], 0
.LBB5_387:                              ;   Parent Loop BB5_278 Depth=1
                                        ;     Parent Loop BB5_307 Depth=2
                                        ; =>    This Inner Loop Header: Depth=3
	s_sleep 1
	global_store_dwordx2 v[6:7], v[22:23], off
	buffer_wbl2
	s_waitcnt vmcnt(0)
	global_atomic_cmpswap_x2 v[24:25], v3, v[20:23], s[34:35] offset:24 glc
	s_waitcnt vmcnt(0)
	v_cmp_eq_u64_e32 vcc, v[24:25], v[22:23]
	s_or_b64 s[4:5], vcc, s[4:5]
	v_pk_mov_b32 v[22:23], v[24:25], v[24:25] op_sel:[0,1]
	s_andn2_b64 exec, exec, s[4:5]
	s_cbranch_execnz .LBB5_387
	s_branch .LBB5_306
.LBB5_388:                              ;   in Loop: Header=BB5_278 Depth=1
	s_branch .LBB5_417
.LBB5_389:                              ;   in Loop: Header=BB5_278 Depth=1
                                        ; implicit-def: $vgpr18_vgpr19
	s_cbranch_execz .LBB5_417
; %bb.390:                              ;   in Loop: Header=BB5_278 Depth=1
	v_readfirstlane_b32 s4, v51
	v_cmp_eq_u32_e64 s[4:5], s4, v51
	v_pk_mov_b32 v[6:7], 0, 0
	s_and_saveexec_b64 s[22:23], s[4:5]
	s_cbranch_execz .LBB5_396
; %bb.391:                              ;   in Loop: Header=BB5_278 Depth=1
	global_load_dwordx2 v[20:21], v3, s[34:35] offset:24 glc
	s_waitcnt vmcnt(0)
	buffer_invl2
	buffer_wbinvl1_vol
	global_load_dwordx2 v[6:7], v3, s[34:35] offset:40
	global_load_dwordx2 v[18:19], v3, s[34:35]
	s_waitcnt vmcnt(1)
	v_and_b32_e32 v2, v6, v20
	v_and_b32_e32 v5, v7, v21
	v_mul_lo_u32 v5, v5, 24
	v_mul_hi_u32 v6, v2, 24
	v_mul_lo_u32 v2, v2, 24
	v_add_u32_e32 v5, v6, v5
	s_waitcnt vmcnt(0)
	v_add_co_u32_e32 v6, vcc, v18, v2
	v_addc_co_u32_e32 v7, vcc, v19, v5, vcc
	global_load_dwordx2 v[18:19], v[6:7], off glc
	s_waitcnt vmcnt(0)
	global_atomic_cmpswap_x2 v[6:7], v3, v[18:21], s[34:35] offset:24 glc
	s_waitcnt vmcnt(0)
	buffer_invl2
	buffer_wbinvl1_vol
	v_cmp_ne_u64_e32 vcc, v[6:7], v[20:21]
	s_and_saveexec_b64 s[24:25], vcc
	s_cbranch_execz .LBB5_395
; %bb.392:                              ;   in Loop: Header=BB5_278 Depth=1
	s_mov_b64 s[28:29], 0
.LBB5_393:                              ;   Parent Loop BB5_278 Depth=1
                                        ; =>  This Inner Loop Header: Depth=2
	s_sleep 1
	global_load_dwordx2 v[18:19], v3, s[34:35] offset:40
	global_load_dwordx2 v[22:23], v3, s[34:35]
	v_pk_mov_b32 v[20:21], v[6:7], v[6:7] op_sel:[0,1]
	s_waitcnt vmcnt(1)
	v_and_b32_e32 v2, v18, v20
	s_waitcnt vmcnt(0)
	v_mad_u64_u32 v[6:7], s[30:31], v2, 24, v[22:23]
	v_and_b32_e32 v5, v19, v21
	v_mov_b32_e32 v2, v7
	v_mad_u64_u32 v[18:19], s[30:31], v5, 24, v[2:3]
	v_mov_b32_e32 v7, v18
	global_load_dwordx2 v[18:19], v[6:7], off glc
	s_waitcnt vmcnt(0)
	global_atomic_cmpswap_x2 v[6:7], v3, v[18:21], s[34:35] offset:24 glc
	s_waitcnt vmcnt(0)
	buffer_invl2
	buffer_wbinvl1_vol
	v_cmp_eq_u64_e32 vcc, v[6:7], v[20:21]
	s_or_b64 s[28:29], vcc, s[28:29]
	s_andn2_b64 exec, exec, s[28:29]
	s_cbranch_execnz .LBB5_393
; %bb.394:                              ;   in Loop: Header=BB5_278 Depth=1
	s_or_b64 exec, exec, s[28:29]
.LBB5_395:                              ;   in Loop: Header=BB5_278 Depth=1
	s_or_b64 exec, exec, s[24:25]
.LBB5_396:                              ;   in Loop: Header=BB5_278 Depth=1
	s_or_b64 exec, exec, s[22:23]
	global_load_dwordx2 v[22:23], v3, s[34:35] offset:40
	global_load_dwordx4 v[18:21], v3, s[34:35]
	v_readfirstlane_b32 s22, v6
	v_readfirstlane_b32 s23, v7
	s_mov_b64 s[24:25], exec
	s_waitcnt vmcnt(1)
	v_readfirstlane_b32 s28, v22
	v_readfirstlane_b32 s29, v23
	s_and_b64 s[28:29], s[22:23], s[28:29]
	s_mul_i32 s30, s29, 24
	s_mul_hi_u32 s31, s28, 24
	s_mul_i32 s52, s28, 24
	s_add_i32 s30, s31, s30
	v_mov_b32_e32 v2, s30
	s_waitcnt vmcnt(0)
	v_add_co_u32_e32 v22, vcc, s52, v18
	v_addc_co_u32_e32 v23, vcc, v19, v2, vcc
	s_and_saveexec_b64 s[30:31], s[4:5]
	s_cbranch_execz .LBB5_398
; %bb.397:                              ;   in Loop: Header=BB5_278 Depth=1
	v_pk_mov_b32 v[6:7], s[24:25], s[24:25] op_sel:[0,1]
	global_store_dwordx4 v[22:23], v[6:9], off offset:8
.LBB5_398:                              ;   in Loop: Header=BB5_278 Depth=1
	s_or_b64 exec, exec, s[30:31]
	s_lshl_b64 s[24:25], s[28:29], 12
	v_mov_b32_e32 v2, s25
	v_add_co_u32_e32 v6, vcc, s24, v20
	v_addc_co_u32_e32 v5, vcc, v21, v2, vcc
	v_pk_mov_b32 v[26:27], s[10:11], s[10:11] op_sel:[0,1]
	v_and_or_b32 v0, v0, s33, 32
	v_mov_b32_e32 v2, v3
	v_readfirstlane_b32 s24, v6
	v_readfirstlane_b32 s25, v5
	v_pk_mov_b32 v[24:25], s[8:9], s[8:9] op_sel:[0,1]
	s_nop 3
	global_store_dwordx4 v50, v[0:3], s[24:25]
	global_store_dwordx4 v50, v[24:27], s[24:25] offset:16
	global_store_dwordx4 v50, v[24:27], s[24:25] offset:32
	;; [unrolled: 1-line block ×3, first 2 shown]
	s_and_saveexec_b64 s[24:25], s[4:5]
	s_cbranch_execz .LBB5_406
; %bb.399:                              ;   in Loop: Header=BB5_278 Depth=1
	global_load_dwordx2 v[26:27], v3, s[34:35] offset:32 glc
	global_load_dwordx2 v[0:1], v3, s[34:35] offset:40
	v_mov_b32_e32 v24, s22
	v_mov_b32_e32 v25, s23
	s_waitcnt vmcnt(0)
	v_readfirstlane_b32 s28, v0
	v_readfirstlane_b32 s29, v1
	s_and_b64 s[28:29], s[28:29], s[22:23]
	s_mul_i32 s29, s29, 24
	s_mul_hi_u32 s30, s28, 24
	s_mul_i32 s28, s28, 24
	s_add_i32 s29, s30, s29
	v_mov_b32_e32 v1, s29
	v_add_co_u32_e32 v0, vcc, s28, v18
	v_addc_co_u32_e32 v1, vcc, v19, v1, vcc
	global_store_dwordx2 v[0:1], v[26:27], off
	buffer_wbl2
	s_waitcnt vmcnt(0)
	global_atomic_cmpswap_x2 v[20:21], v3, v[24:27], s[34:35] offset:32 glc
	s_waitcnt vmcnt(0)
	v_cmp_ne_u64_e32 vcc, v[20:21], v[26:27]
	s_and_saveexec_b64 s[28:29], vcc
	s_cbranch_execz .LBB5_402
; %bb.400:                              ;   in Loop: Header=BB5_278 Depth=1
	s_mov_b64 s[30:31], 0
.LBB5_401:                              ;   Parent Loop BB5_278 Depth=1
                                        ; =>  This Inner Loop Header: Depth=2
	s_sleep 1
	global_store_dwordx2 v[0:1], v[20:21], off
	v_mov_b32_e32 v18, s22
	v_mov_b32_e32 v19, s23
	buffer_wbl2
	s_waitcnt vmcnt(0)
	global_atomic_cmpswap_x2 v[18:19], v3, v[18:21], s[34:35] offset:32 glc
	s_waitcnt vmcnt(0)
	v_cmp_eq_u64_e32 vcc, v[18:19], v[20:21]
	s_or_b64 s[30:31], vcc, s[30:31]
	v_pk_mov_b32 v[20:21], v[18:19], v[18:19] op_sel:[0,1]
	s_andn2_b64 exec, exec, s[30:31]
	s_cbranch_execnz .LBB5_401
.LBB5_402:                              ;   in Loop: Header=BB5_278 Depth=1
	s_or_b64 exec, exec, s[28:29]
	global_load_dwordx2 v[0:1], v3, s[34:35] offset:16
	s_mov_b64 s[30:31], exec
	v_mbcnt_lo_u32_b32 v2, s30, 0
	v_mbcnt_hi_u32_b32 v2, s31, v2
	v_cmp_eq_u32_e32 vcc, 0, v2
	s_and_saveexec_b64 s[28:29], vcc
	s_cbranch_execz .LBB5_404
; %bb.403:                              ;   in Loop: Header=BB5_278 Depth=1
	s_bcnt1_i32_b64 s30, s[30:31]
	v_mov_b32_e32 v2, s30
	buffer_wbl2
	s_waitcnt vmcnt(0)
	global_atomic_add_x2 v[0:1], v[2:3], off offset:8
.LBB5_404:                              ;   in Loop: Header=BB5_278 Depth=1
	s_or_b64 exec, exec, s[28:29]
	s_waitcnt vmcnt(0)
	global_load_dwordx2 v[18:19], v[0:1], off offset:16
	s_waitcnt vmcnt(0)
	v_cmp_eq_u64_e32 vcc, 0, v[18:19]
	s_cbranch_vccnz .LBB5_406
; %bb.405:                              ;   in Loop: Header=BB5_278 Depth=1
	global_load_dword v2, v[0:1], off offset:24
	s_waitcnt vmcnt(0)
	v_and_b32_e32 v0, 0xffffff, v2
	v_readfirstlane_b32 m0, v0
	buffer_wbl2
	global_store_dwordx2 v[18:19], v[2:3], off
	s_sendmsg sendmsg(MSG_INTERRUPT)
.LBB5_406:                              ;   in Loop: Header=BB5_278 Depth=1
	s_or_b64 exec, exec, s[24:25]
	v_add_co_u32_e32 v0, vcc, v6, v50
	v_addc_co_u32_e32 v1, vcc, 0, v5, vcc
	s_branch .LBB5_410
.LBB5_407:                              ;   in Loop: Header=BB5_410 Depth=2
	s_or_b64 exec, exec, s[24:25]
	v_readfirstlane_b32 s24, v2
	s_cmp_eq_u32 s24, 0
	s_cbranch_scc1 .LBB5_409
; %bb.408:                              ;   in Loop: Header=BB5_410 Depth=2
	s_sleep 1
	s_cbranch_execnz .LBB5_410
	s_branch .LBB5_412
.LBB5_409:                              ;   in Loop: Header=BB5_278 Depth=1
	s_branch .LBB5_412
.LBB5_410:                              ;   Parent Loop BB5_278 Depth=1
                                        ; =>  This Inner Loop Header: Depth=2
	v_mov_b32_e32 v2, 1
	s_and_saveexec_b64 s[24:25], s[4:5]
	s_cbranch_execz .LBB5_407
; %bb.411:                              ;   in Loop: Header=BB5_410 Depth=2
	global_load_dword v2, v[22:23], off offset:20 glc
	s_waitcnt vmcnt(0)
	buffer_invl2
	buffer_wbinvl1_vol
	v_and_b32_e32 v2, 1, v2
	s_branch .LBB5_407
.LBB5_412:                              ;   in Loop: Header=BB5_278 Depth=1
	global_load_dwordx2 v[18:19], v[0:1], off
	s_and_saveexec_b64 s[24:25], s[4:5]
	s_cbranch_execz .LBB5_416
; %bb.413:                              ;   in Loop: Header=BB5_278 Depth=1
	global_load_dwordx2 v[0:1], v3, s[34:35] offset:40
	global_load_dwordx2 v[6:7], v3, s[34:35] offset:24 glc
	global_load_dwordx2 v[24:25], v3, s[34:35]
	v_mov_b32_e32 v2, s23
	s_waitcnt vmcnt(2)
	v_add_co_u32_e32 v5, vcc, 1, v0
	v_addc_co_u32_e32 v23, vcc, 0, v1, vcc
	v_add_co_u32_e32 v20, vcc, s22, v5
	v_addc_co_u32_e32 v21, vcc, v23, v2, vcc
	v_cmp_eq_u64_e32 vcc, 0, v[20:21]
	v_cndmask_b32_e32 v21, v21, v23, vcc
	v_cndmask_b32_e32 v20, v20, v5, vcc
	v_and_b32_e32 v1, v21, v1
	v_and_b32_e32 v0, v20, v0
	v_mul_lo_u32 v1, v1, 24
	v_mul_hi_u32 v2, v0, 24
	v_mul_lo_u32 v0, v0, 24
	v_add_u32_e32 v1, v2, v1
	s_waitcnt vmcnt(0)
	v_add_co_u32_e32 v0, vcc, v24, v0
	v_addc_co_u32_e32 v1, vcc, v25, v1, vcc
	v_mov_b32_e32 v22, v6
	global_store_dwordx2 v[0:1], v[6:7], off
	v_mov_b32_e32 v23, v7
	buffer_wbl2
	s_waitcnt vmcnt(0)
	global_atomic_cmpswap_x2 v[22:23], v3, v[20:23], s[34:35] offset:24 glc
	s_waitcnt vmcnt(0)
	v_cmp_ne_u64_e32 vcc, v[22:23], v[6:7]
	s_and_b64 exec, exec, vcc
	s_cbranch_execz .LBB5_416
; %bb.414:                              ;   in Loop: Header=BB5_278 Depth=1
	s_mov_b64 s[4:5], 0
.LBB5_415:                              ;   Parent Loop BB5_278 Depth=1
                                        ; =>  This Inner Loop Header: Depth=2
	s_sleep 1
	global_store_dwordx2 v[0:1], v[22:23], off
	buffer_wbl2
	s_waitcnt vmcnt(0)
	global_atomic_cmpswap_x2 v[6:7], v3, v[20:23], s[34:35] offset:24 glc
	s_waitcnt vmcnt(0)
	v_cmp_eq_u64_e32 vcc, v[6:7], v[22:23]
	s_or_b64 s[4:5], vcc, s[4:5]
	v_pk_mov_b32 v[22:23], v[6:7], v[6:7] op_sel:[0,1]
	s_andn2_b64 exec, exec, s[4:5]
	s_cbranch_execnz .LBB5_415
.LBB5_416:                              ;   in Loop: Header=BB5_278 Depth=1
	s_or_b64 exec, exec, s[24:25]
.LBB5_417:                              ;   in Loop: Header=BB5_278 Depth=1
	v_readfirstlane_b32 s4, v51
	v_cmp_eq_u32_e64 s[4:5], s4, v51
	s_waitcnt vmcnt(0)
	v_pk_mov_b32 v[0:1], 0, 0
	s_and_saveexec_b64 s[22:23], s[4:5]
	s_cbranch_execz .LBB5_423
; %bb.418:                              ;   in Loop: Header=BB5_278 Depth=1
	global_load_dwordx2 v[22:23], v3, s[34:35] offset:24 glc
	s_waitcnt vmcnt(0)
	buffer_invl2
	buffer_wbinvl1_vol
	global_load_dwordx2 v[0:1], v3, s[34:35] offset:40
	global_load_dwordx2 v[6:7], v3, s[34:35]
	s_waitcnt vmcnt(1)
	v_and_b32_e32 v0, v0, v22
	v_and_b32_e32 v1, v1, v23
	v_mul_lo_u32 v1, v1, 24
	v_mul_hi_u32 v2, v0, 24
	v_mul_lo_u32 v0, v0, 24
	v_add_u32_e32 v1, v2, v1
	s_waitcnt vmcnt(0)
	v_add_co_u32_e32 v0, vcc, v6, v0
	v_addc_co_u32_e32 v1, vcc, v7, v1, vcc
	global_load_dwordx2 v[20:21], v[0:1], off glc
	s_waitcnt vmcnt(0)
	global_atomic_cmpswap_x2 v[0:1], v3, v[20:23], s[34:35] offset:24 glc
	s_waitcnt vmcnt(0)
	buffer_invl2
	buffer_wbinvl1_vol
	v_cmp_ne_u64_e32 vcc, v[0:1], v[22:23]
	s_and_saveexec_b64 s[24:25], vcc
	s_cbranch_execz .LBB5_422
; %bb.419:                              ;   in Loop: Header=BB5_278 Depth=1
	s_mov_b64 s[28:29], 0
.LBB5_420:                              ;   Parent Loop BB5_278 Depth=1
                                        ; =>  This Inner Loop Header: Depth=2
	s_sleep 1
	global_load_dwordx2 v[6:7], v3, s[34:35] offset:40
	global_load_dwordx2 v[20:21], v3, s[34:35]
	v_pk_mov_b32 v[22:23], v[0:1], v[0:1] op_sel:[0,1]
	s_waitcnt vmcnt(1)
	v_and_b32_e32 v0, v6, v22
	s_waitcnt vmcnt(0)
	v_mad_u64_u32 v[0:1], s[30:31], v0, 24, v[20:21]
	v_and_b32_e32 v5, v7, v23
	v_mov_b32_e32 v2, v1
	v_mad_u64_u32 v[6:7], s[30:31], v5, 24, v[2:3]
	v_mov_b32_e32 v1, v6
	global_load_dwordx2 v[20:21], v[0:1], off glc
	s_waitcnt vmcnt(0)
	global_atomic_cmpswap_x2 v[0:1], v3, v[20:23], s[34:35] offset:24 glc
	s_waitcnt vmcnt(0)
	buffer_invl2
	buffer_wbinvl1_vol
	v_cmp_eq_u64_e32 vcc, v[0:1], v[22:23]
	s_or_b64 s[28:29], vcc, s[28:29]
	s_andn2_b64 exec, exec, s[28:29]
	s_cbranch_execnz .LBB5_420
; %bb.421:                              ;   in Loop: Header=BB5_278 Depth=1
	s_or_b64 exec, exec, s[28:29]
.LBB5_422:                              ;   in Loop: Header=BB5_278 Depth=1
	s_or_b64 exec, exec, s[24:25]
.LBB5_423:                              ;   in Loop: Header=BB5_278 Depth=1
	s_or_b64 exec, exec, s[22:23]
	global_load_dwordx2 v[6:7], v3, s[34:35] offset:40
	global_load_dwordx4 v[22:25], v3, s[34:35]
	v_readfirstlane_b32 s22, v0
	v_readfirstlane_b32 s23, v1
	s_mov_b64 s[24:25], exec
	s_waitcnt vmcnt(1)
	v_readfirstlane_b32 s28, v6
	v_readfirstlane_b32 s29, v7
	s_and_b64 s[28:29], s[22:23], s[28:29]
	s_mul_i32 s30, s29, 24
	s_mul_hi_u32 s31, s28, 24
	s_mul_i32 s52, s28, 24
	s_add_i32 s30, s31, s30
	v_mov_b32_e32 v1, s30
	s_waitcnt vmcnt(0)
	v_add_co_u32_e32 v0, vcc, s52, v22
	v_addc_co_u32_e32 v1, vcc, v23, v1, vcc
	s_and_saveexec_b64 s[30:31], s[4:5]
	s_cbranch_execz .LBB5_425
; %bb.424:                              ;   in Loop: Header=BB5_278 Depth=1
	v_pk_mov_b32 v[6:7], s[24:25], s[24:25] op_sel:[0,1]
	global_store_dwordx4 v[0:1], v[6:9], off offset:8
.LBB5_425:                              ;   in Loop: Header=BB5_278 Depth=1
	s_or_b64 exec, exec, s[30:31]
	s_lshl_b64 s[24:25], s[28:29], 12
	v_mov_b32_e32 v5, s25
	v_add_co_u32_e32 v2, vcc, s24, v24
	v_addc_co_u32_e32 v5, vcc, v25, v5, vcc
	v_and_or_b32 v18, v18, s60, 34
	v_mov_b32_e32 v20, s18
	v_mov_b32_e32 v21, v3
	v_readfirstlane_b32 s24, v2
	v_readfirstlane_b32 s25, v5
	s_nop 4
	global_store_dwordx4 v50, v[18:21], s[24:25]
	s_nop 0
	v_pk_mov_b32 v[20:21], s[10:11], s[10:11] op_sel:[0,1]
	v_pk_mov_b32 v[18:19], s[8:9], s[8:9] op_sel:[0,1]
	global_store_dwordx4 v50, v[18:21], s[24:25] offset:16
	global_store_dwordx4 v50, v[18:21], s[24:25] offset:32
	;; [unrolled: 1-line block ×3, first 2 shown]
	s_and_saveexec_b64 s[24:25], s[4:5]
	s_cbranch_execz .LBB5_433
; %bb.426:                              ;   in Loop: Header=BB5_278 Depth=1
	global_load_dwordx2 v[26:27], v3, s[34:35] offset:32 glc
	global_load_dwordx2 v[6:7], v3, s[34:35] offset:40
	v_mov_b32_e32 v24, s22
	v_mov_b32_e32 v25, s23
	s_waitcnt vmcnt(0)
	v_readfirstlane_b32 s28, v6
	v_readfirstlane_b32 s29, v7
	s_and_b64 s[28:29], s[28:29], s[22:23]
	s_mul_i32 s29, s29, 24
	s_mul_hi_u32 s30, s28, 24
	s_mul_i32 s28, s28, 24
	s_add_i32 s29, s30, s29
	v_mov_b32_e32 v2, s29
	v_add_co_u32_e32 v6, vcc, s28, v22
	v_addc_co_u32_e32 v7, vcc, v23, v2, vcc
	global_store_dwordx2 v[6:7], v[26:27], off
	buffer_wbl2
	s_waitcnt vmcnt(0)
	global_atomic_cmpswap_x2 v[20:21], v3, v[24:27], s[34:35] offset:32 glc
	s_waitcnt vmcnt(0)
	v_cmp_ne_u64_e32 vcc, v[20:21], v[26:27]
	s_and_saveexec_b64 s[28:29], vcc
	s_cbranch_execz .LBB5_429
; %bb.427:                              ;   in Loop: Header=BB5_278 Depth=1
	s_mov_b64 s[30:31], 0
.LBB5_428:                              ;   Parent Loop BB5_278 Depth=1
                                        ; =>  This Inner Loop Header: Depth=2
	s_sleep 1
	global_store_dwordx2 v[6:7], v[20:21], off
	v_mov_b32_e32 v18, s22
	v_mov_b32_e32 v19, s23
	buffer_wbl2
	s_waitcnt vmcnt(0)
	global_atomic_cmpswap_x2 v[18:19], v3, v[18:21], s[34:35] offset:32 glc
	s_waitcnt vmcnt(0)
	v_cmp_eq_u64_e32 vcc, v[18:19], v[20:21]
	s_or_b64 s[30:31], vcc, s[30:31]
	v_pk_mov_b32 v[20:21], v[18:19], v[18:19] op_sel:[0,1]
	s_andn2_b64 exec, exec, s[30:31]
	s_cbranch_execnz .LBB5_428
.LBB5_429:                              ;   in Loop: Header=BB5_278 Depth=1
	s_or_b64 exec, exec, s[28:29]
	global_load_dwordx2 v[6:7], v3, s[34:35] offset:16
	s_mov_b64 s[30:31], exec
	v_mbcnt_lo_u32_b32 v2, s30, 0
	v_mbcnt_hi_u32_b32 v2, s31, v2
	v_cmp_eq_u32_e32 vcc, 0, v2
	s_and_saveexec_b64 s[28:29], vcc
	s_cbranch_execz .LBB5_431
; %bb.430:                              ;   in Loop: Header=BB5_278 Depth=1
	s_bcnt1_i32_b64 s30, s[30:31]
	v_mov_b32_e32 v2, s30
	buffer_wbl2
	s_waitcnt vmcnt(0)
	global_atomic_add_x2 v[6:7], v[2:3], off offset:8
.LBB5_431:                              ;   in Loop: Header=BB5_278 Depth=1
	s_or_b64 exec, exec, s[28:29]
	s_waitcnt vmcnt(0)
	global_load_dwordx2 v[18:19], v[6:7], off offset:16
	s_waitcnt vmcnt(0)
	v_cmp_eq_u64_e32 vcc, 0, v[18:19]
	s_cbranch_vccnz .LBB5_433
; %bb.432:                              ;   in Loop: Header=BB5_278 Depth=1
	global_load_dword v2, v[6:7], off offset:24
	buffer_wbl2
	s_waitcnt vmcnt(0)
	global_store_dwordx2 v[18:19], v[2:3], off
	v_and_b32_e32 v2, 0xffffff, v2
	v_readfirstlane_b32 m0, v2
	s_sendmsg sendmsg(MSG_INTERRUPT)
.LBB5_433:                              ;   in Loop: Header=BB5_278 Depth=1
	s_or_b64 exec, exec, s[24:25]
	s_branch .LBB5_437
.LBB5_434:                              ;   in Loop: Header=BB5_437 Depth=2
	s_or_b64 exec, exec, s[24:25]
	v_readfirstlane_b32 s24, v2
	s_cmp_eq_u32 s24, 0
	s_cbranch_scc1 .LBB5_436
; %bb.435:                              ;   in Loop: Header=BB5_437 Depth=2
	s_sleep 1
	s_cbranch_execnz .LBB5_437
	s_branch .LBB5_439
.LBB5_436:                              ;   in Loop: Header=BB5_278 Depth=1
	s_branch .LBB5_439
.LBB5_437:                              ;   Parent Loop BB5_278 Depth=1
                                        ; =>  This Inner Loop Header: Depth=2
	v_mov_b32_e32 v2, 1
	s_and_saveexec_b64 s[24:25], s[4:5]
	s_cbranch_execz .LBB5_434
; %bb.438:                              ;   in Loop: Header=BB5_437 Depth=2
	global_load_dword v2, v[0:1], off offset:20 glc
	s_waitcnt vmcnt(0)
	buffer_invl2
	buffer_wbinvl1_vol
	v_and_b32_e32 v2, 1, v2
	s_branch .LBB5_434
.LBB5_439:                              ;   in Loop: Header=BB5_278 Depth=1
	s_and_saveexec_b64 s[24:25], s[4:5]
	s_cbranch_execz .LBB5_443
; %bb.440:                              ;   in Loop: Header=BB5_278 Depth=1
	global_load_dwordx2 v[0:1], v3, s[34:35] offset:40
	global_load_dwordx2 v[6:7], v3, s[34:35] offset:24 glc
	global_load_dwordx2 v[22:23], v3, s[34:35]
	v_mov_b32_e32 v2, s23
	s_waitcnt vmcnt(2)
	v_add_co_u32_e32 v5, vcc, 1, v0
	v_addc_co_u32_e32 v21, vcc, 0, v1, vcc
	v_add_co_u32_e32 v18, vcc, s22, v5
	v_addc_co_u32_e32 v19, vcc, v21, v2, vcc
	v_cmp_eq_u64_e32 vcc, 0, v[18:19]
	v_cndmask_b32_e32 v19, v19, v21, vcc
	v_cndmask_b32_e32 v18, v18, v5, vcc
	v_and_b32_e32 v1, v19, v1
	v_and_b32_e32 v0, v18, v0
	v_mul_lo_u32 v1, v1, 24
	v_mul_hi_u32 v2, v0, 24
	v_mul_lo_u32 v0, v0, 24
	v_add_u32_e32 v1, v2, v1
	s_waitcnt vmcnt(0)
	v_add_co_u32_e32 v0, vcc, v22, v0
	v_addc_co_u32_e32 v1, vcc, v23, v1, vcc
	v_mov_b32_e32 v20, v6
	global_store_dwordx2 v[0:1], v[6:7], off
	v_mov_b32_e32 v21, v7
	buffer_wbl2
	s_waitcnt vmcnt(0)
	global_atomic_cmpswap_x2 v[20:21], v3, v[18:21], s[34:35] offset:24 glc
	s_waitcnt vmcnt(0)
	v_cmp_ne_u64_e32 vcc, v[20:21], v[6:7]
	s_and_b64 exec, exec, vcc
	s_cbranch_execz .LBB5_443
; %bb.441:                              ;   in Loop: Header=BB5_278 Depth=1
	s_mov_b64 s[4:5], 0
.LBB5_442:                              ;   Parent Loop BB5_278 Depth=1
                                        ; =>  This Inner Loop Header: Depth=2
	s_sleep 1
	global_store_dwordx2 v[0:1], v[20:21], off
	buffer_wbl2
	s_waitcnt vmcnt(0)
	global_atomic_cmpswap_x2 v[6:7], v3, v[18:21], s[34:35] offset:24 glc
	s_waitcnt vmcnt(0)
	v_cmp_eq_u64_e32 vcc, v[6:7], v[20:21]
	s_or_b64 s[4:5], vcc, s[4:5]
	v_pk_mov_b32 v[20:21], v[6:7], v[6:7] op_sel:[0,1]
	s_andn2_b64 exec, exec, s[4:5]
	s_cbranch_execnz .LBB5_442
.LBB5_443:                              ;   in Loop: Header=BB5_278 Depth=1
	s_or_b64 exec, exec, s[24:25]
	s_lshl_b64 s[22:23], s[18:19], 2
	s_add_u32 s4, s44, s22
	s_addc_u32 s5, s45, s23
	global_load_dword v0, v3, s[4:5]
	s_waitcnt vmcnt(0)
	v_cmp_eq_u32_e32 vcc, -1, v0
	v_readfirstlane_b32 s61, v0
	s_cbranch_vccnz .LBB5_555
; %bb.444:                              ;   in Loop: Header=BB5_278 Depth=1
	v_readfirstlane_b32 s4, v51
	v_cmp_eq_u32_e64 s[4:5], s4, v51
	v_pk_mov_b32 v[0:1], 0, 0
	s_and_saveexec_b64 s[24:25], s[4:5]
	s_cbranch_execz .LBB5_450
; %bb.445:                              ;   in Loop: Header=BB5_278 Depth=1
	global_load_dwordx2 v[20:21], v3, s[34:35] offset:24 glc
	s_waitcnt vmcnt(0)
	buffer_invl2
	buffer_wbinvl1_vol
	global_load_dwordx2 v[0:1], v3, s[34:35] offset:40
	global_load_dwordx2 v[6:7], v3, s[34:35]
	s_waitcnt vmcnt(1)
	v_and_b32_e32 v0, v0, v20
	v_and_b32_e32 v1, v1, v21
	v_mul_lo_u32 v1, v1, 24
	v_mul_hi_u32 v2, v0, 24
	v_mul_lo_u32 v0, v0, 24
	v_add_u32_e32 v1, v2, v1
	s_waitcnt vmcnt(0)
	v_add_co_u32_e32 v0, vcc, v6, v0
	v_addc_co_u32_e32 v1, vcc, v7, v1, vcc
	global_load_dwordx2 v[18:19], v[0:1], off glc
	s_waitcnt vmcnt(0)
	global_atomic_cmpswap_x2 v[0:1], v3, v[18:21], s[34:35] offset:24 glc
	s_waitcnt vmcnt(0)
	buffer_invl2
	buffer_wbinvl1_vol
	v_cmp_ne_u64_e32 vcc, v[0:1], v[20:21]
	s_and_saveexec_b64 s[28:29], vcc
	s_cbranch_execz .LBB5_449
; %bb.446:                              ;   in Loop: Header=BB5_278 Depth=1
	s_mov_b64 s[30:31], 0
.LBB5_447:                              ;   Parent Loop BB5_278 Depth=1
                                        ; =>  This Inner Loop Header: Depth=2
	s_sleep 1
	global_load_dwordx2 v[6:7], v3, s[34:35] offset:40
	global_load_dwordx2 v[18:19], v3, s[34:35]
	v_pk_mov_b32 v[20:21], v[0:1], v[0:1] op_sel:[0,1]
	s_waitcnt vmcnt(1)
	v_and_b32_e32 v0, v6, v20
	s_waitcnt vmcnt(0)
	v_mad_u64_u32 v[0:1], s[52:53], v0, 24, v[18:19]
	v_and_b32_e32 v5, v7, v21
	v_mov_b32_e32 v2, v1
	v_mad_u64_u32 v[6:7], s[52:53], v5, 24, v[2:3]
	v_mov_b32_e32 v1, v6
	global_load_dwordx2 v[18:19], v[0:1], off glc
	s_waitcnt vmcnt(0)
	global_atomic_cmpswap_x2 v[0:1], v3, v[18:21], s[34:35] offset:24 glc
	s_waitcnt vmcnt(0)
	buffer_invl2
	buffer_wbinvl1_vol
	v_cmp_eq_u64_e32 vcc, v[0:1], v[20:21]
	s_or_b64 s[30:31], vcc, s[30:31]
	s_andn2_b64 exec, exec, s[30:31]
	s_cbranch_execnz .LBB5_447
; %bb.448:                              ;   in Loop: Header=BB5_278 Depth=1
	s_or_b64 exec, exec, s[30:31]
.LBB5_449:                              ;   in Loop: Header=BB5_278 Depth=1
	s_or_b64 exec, exec, s[28:29]
.LBB5_450:                              ;   in Loop: Header=BB5_278 Depth=1
	s_or_b64 exec, exec, s[24:25]
	global_load_dwordx2 v[6:7], v3, s[34:35] offset:40
	global_load_dwordx4 v[18:21], v3, s[34:35]
	v_readfirstlane_b32 s24, v0
	v_readfirstlane_b32 s25, v1
	s_mov_b64 s[28:29], exec
	s_waitcnt vmcnt(1)
	v_readfirstlane_b32 s30, v6
	v_readfirstlane_b32 s31, v7
	s_and_b64 s[30:31], s[24:25], s[30:31]
	s_mul_i32 s52, s31, 24
	s_mul_hi_u32 s53, s30, 24
	s_mul_i32 s54, s30, 24
	s_add_i32 s52, s53, s52
	v_mov_b32_e32 v1, s52
	s_waitcnt vmcnt(0)
	v_add_co_u32_e32 v0, vcc, s54, v18
	v_addc_co_u32_e32 v1, vcc, v19, v1, vcc
	s_and_saveexec_b64 s[52:53], s[4:5]
	s_cbranch_execz .LBB5_452
; %bb.451:                              ;   in Loop: Header=BB5_278 Depth=1
	v_pk_mov_b32 v[6:7], s[28:29], s[28:29] op_sel:[0,1]
	global_store_dwordx4 v[0:1], v[6:9], off offset:8
.LBB5_452:                              ;   in Loop: Header=BB5_278 Depth=1
	s_or_b64 exec, exec, s[52:53]
	s_lshl_b64 s[28:29], s[30:31], 12
	v_mov_b32_e32 v2, s29
	v_add_co_u32_e32 v22, vcc, s28, v20
	v_addc_co_u32_e32 v23, vcc, v21, v2, vcc
	v_pk_mov_b32 v[26:27], s[10:11], s[10:11] op_sel:[0,1]
	v_mov_b32_e32 v5, v3
	v_mov_b32_e32 v6, v3
	;; [unrolled: 1-line block ×3, first 2 shown]
	v_readfirstlane_b32 s28, v22
	v_readfirstlane_b32 s29, v23
	v_pk_mov_b32 v[24:25], s[8:9], s[8:9] op_sel:[0,1]
	s_nop 3
	global_store_dwordx4 v50, v[4:7], s[28:29]
	global_store_dwordx4 v50, v[24:27], s[28:29] offset:16
	global_store_dwordx4 v50, v[24:27], s[28:29] offset:32
	;; [unrolled: 1-line block ×3, first 2 shown]
	s_and_saveexec_b64 s[28:29], s[4:5]
	s_cbranch_execz .LBB5_460
; %bb.453:                              ;   in Loop: Header=BB5_278 Depth=1
	global_load_dwordx2 v[26:27], v3, s[34:35] offset:32 glc
	global_load_dwordx2 v[6:7], v3, s[34:35] offset:40
	v_mov_b32_e32 v24, s24
	v_mov_b32_e32 v25, s25
	s_waitcnt vmcnt(0)
	v_readfirstlane_b32 s30, v6
	v_readfirstlane_b32 s31, v7
	s_and_b64 s[30:31], s[30:31], s[24:25]
	s_mul_i32 s31, s31, 24
	s_mul_hi_u32 s52, s30, 24
	s_mul_i32 s30, s30, 24
	s_add_i32 s31, s52, s31
	v_mov_b32_e32 v2, s31
	v_add_co_u32_e32 v6, vcc, s30, v18
	v_addc_co_u32_e32 v7, vcc, v19, v2, vcc
	global_store_dwordx2 v[6:7], v[26:27], off
	buffer_wbl2
	s_waitcnt vmcnt(0)
	global_atomic_cmpswap_x2 v[20:21], v3, v[24:27], s[34:35] offset:32 glc
	s_waitcnt vmcnt(0)
	v_cmp_ne_u64_e32 vcc, v[20:21], v[26:27]
	s_and_saveexec_b64 s[30:31], vcc
	s_cbranch_execz .LBB5_456
; %bb.454:                              ;   in Loop: Header=BB5_278 Depth=1
	s_mov_b64 s[52:53], 0
.LBB5_455:                              ;   Parent Loop BB5_278 Depth=1
                                        ; =>  This Inner Loop Header: Depth=2
	s_sleep 1
	global_store_dwordx2 v[6:7], v[20:21], off
	v_mov_b32_e32 v18, s24
	v_mov_b32_e32 v19, s25
	buffer_wbl2
	s_waitcnt vmcnt(0)
	global_atomic_cmpswap_x2 v[18:19], v3, v[18:21], s[34:35] offset:32 glc
	s_waitcnt vmcnt(0)
	v_cmp_eq_u64_e32 vcc, v[18:19], v[20:21]
	s_or_b64 s[52:53], vcc, s[52:53]
	v_pk_mov_b32 v[20:21], v[18:19], v[18:19] op_sel:[0,1]
	s_andn2_b64 exec, exec, s[52:53]
	s_cbranch_execnz .LBB5_455
.LBB5_456:                              ;   in Loop: Header=BB5_278 Depth=1
	s_or_b64 exec, exec, s[30:31]
	global_load_dwordx2 v[6:7], v3, s[34:35] offset:16
	s_mov_b64 s[52:53], exec
	v_mbcnt_lo_u32_b32 v2, s52, 0
	v_mbcnt_hi_u32_b32 v2, s53, v2
	v_cmp_eq_u32_e32 vcc, 0, v2
	s_and_saveexec_b64 s[30:31], vcc
	s_cbranch_execz .LBB5_458
; %bb.457:                              ;   in Loop: Header=BB5_278 Depth=1
	s_bcnt1_i32_b64 s52, s[52:53]
	v_mov_b32_e32 v2, s52
	buffer_wbl2
	s_waitcnt vmcnt(0)
	global_atomic_add_x2 v[6:7], v[2:3], off offset:8
.LBB5_458:                              ;   in Loop: Header=BB5_278 Depth=1
	s_or_b64 exec, exec, s[30:31]
	s_waitcnt vmcnt(0)
	global_load_dwordx2 v[18:19], v[6:7], off offset:16
	s_waitcnt vmcnt(0)
	v_cmp_eq_u64_e32 vcc, 0, v[18:19]
	s_cbranch_vccnz .LBB5_460
; %bb.459:                              ;   in Loop: Header=BB5_278 Depth=1
	global_load_dword v2, v[6:7], off offset:24
	buffer_wbl2
	s_waitcnt vmcnt(0)
	global_store_dwordx2 v[18:19], v[2:3], off
	v_and_b32_e32 v2, 0xffffff, v2
	v_readfirstlane_b32 m0, v2
	s_sendmsg sendmsg(MSG_INTERRUPT)
.LBB5_460:                              ;   in Loop: Header=BB5_278 Depth=1
	s_or_b64 exec, exec, s[28:29]
	v_add_co_u32_e32 v6, vcc, v22, v50
	v_addc_co_u32_e32 v7, vcc, 0, v23, vcc
	s_branch .LBB5_464
.LBB5_461:                              ;   in Loop: Header=BB5_464 Depth=2
	s_or_b64 exec, exec, s[28:29]
	v_readfirstlane_b32 s28, v2
	s_cmp_eq_u32 s28, 0
	s_cbranch_scc1 .LBB5_463
; %bb.462:                              ;   in Loop: Header=BB5_464 Depth=2
	s_sleep 1
	s_cbranch_execnz .LBB5_464
	s_branch .LBB5_466
.LBB5_463:                              ;   in Loop: Header=BB5_278 Depth=1
	s_branch .LBB5_466
.LBB5_464:                              ;   Parent Loop BB5_278 Depth=1
                                        ; =>  This Inner Loop Header: Depth=2
	v_mov_b32_e32 v2, 1
	s_and_saveexec_b64 s[28:29], s[4:5]
	s_cbranch_execz .LBB5_461
; %bb.465:                              ;   in Loop: Header=BB5_464 Depth=2
	global_load_dword v2, v[0:1], off offset:20 glc
	s_waitcnt vmcnt(0)
	buffer_invl2
	buffer_wbinvl1_vol
	v_and_b32_e32 v2, 1, v2
	s_branch .LBB5_461
.LBB5_466:                              ;   in Loop: Header=BB5_278 Depth=1
	global_load_dwordx2 v[0:1], v[6:7], off
	s_and_saveexec_b64 s[28:29], s[4:5]
	s_cbranch_execz .LBB5_470
; %bb.467:                              ;   in Loop: Header=BB5_278 Depth=1
	global_load_dwordx2 v[6:7], v3, s[34:35] offset:40
	global_load_dwordx2 v[22:23], v3, s[34:35] offset:24 glc
	global_load_dwordx2 v[24:25], v3, s[34:35]
	v_mov_b32_e32 v2, s25
	s_waitcnt vmcnt(2)
	v_add_co_u32_e32 v5, vcc, 1, v6
	v_addc_co_u32_e32 v21, vcc, 0, v7, vcc
	v_add_co_u32_e32 v18, vcc, s24, v5
	v_addc_co_u32_e32 v19, vcc, v21, v2, vcc
	v_cmp_eq_u64_e32 vcc, 0, v[18:19]
	v_cndmask_b32_e32 v19, v19, v21, vcc
	v_cndmask_b32_e32 v18, v18, v5, vcc
	v_and_b32_e32 v2, v19, v7
	v_and_b32_e32 v5, v18, v6
	v_mul_lo_u32 v2, v2, 24
	v_mul_hi_u32 v6, v5, 24
	v_mul_lo_u32 v5, v5, 24
	v_add_u32_e32 v2, v6, v2
	s_waitcnt vmcnt(0)
	v_add_co_u32_e32 v6, vcc, v24, v5
	v_addc_co_u32_e32 v7, vcc, v25, v2, vcc
	v_mov_b32_e32 v20, v22
	global_store_dwordx2 v[6:7], v[22:23], off
	v_mov_b32_e32 v21, v23
	buffer_wbl2
	s_waitcnt vmcnt(0)
	global_atomic_cmpswap_x2 v[20:21], v3, v[18:21], s[34:35] offset:24 glc
	s_waitcnt vmcnt(0)
	v_cmp_ne_u64_e32 vcc, v[20:21], v[22:23]
	s_and_b64 exec, exec, vcc
	s_cbranch_execz .LBB5_470
; %bb.468:                              ;   in Loop: Header=BB5_278 Depth=1
	s_mov_b64 s[4:5], 0
.LBB5_469:                              ;   Parent Loop BB5_278 Depth=1
                                        ; =>  This Inner Loop Header: Depth=2
	s_sleep 1
	global_store_dwordx2 v[6:7], v[20:21], off
	buffer_wbl2
	s_waitcnt vmcnt(0)
	global_atomic_cmpswap_x2 v[22:23], v3, v[18:21], s[34:35] offset:24 glc
	s_waitcnt vmcnt(0)
	v_cmp_eq_u64_e32 vcc, v[22:23], v[20:21]
	s_or_b64 s[4:5], vcc, s[4:5]
	v_pk_mov_b32 v[20:21], v[22:23], v[22:23] op_sel:[0,1]
	s_andn2_b64 exec, exec, s[4:5]
	s_cbranch_execnz .LBB5_469
.LBB5_470:                              ;   in Loop: Header=BB5_278 Depth=1
	s_or_b64 exec, exec, s[28:29]
	s_and_b64 vcc, exec, s[12:13]
	s_cbranch_vccz .LBB5_556
; %bb.471:                              ;   in Loop: Header=BB5_278 Depth=1
	s_waitcnt vmcnt(0)
	v_and_b32_e32 v38, 2, v0
	v_and_b32_e32 v18, -3, v0
	v_mov_b32_e32 v19, v1
	s_mov_b64 s[28:29], 6
	s_getpc_b64 s[24:25]
	s_add_u32 s24, s24, .str.3@rel32@lo+4
	s_addc_u32 s25, s25, .str.3@rel32@hi+12
	s_branch .LBB5_473
.LBB5_472:                              ;   in Loop: Header=BB5_473 Depth=2
	s_or_b64 exec, exec, s[54:55]
	s_sub_u32 s28, s28, s30
	s_subb_u32 s29, s29, s31
	s_add_u32 s24, s24, s30
	s_addc_u32 s25, s25, s31
	s_cmp_lg_u64 s[28:29], 0
	s_cbranch_scc0 .LBB5_554
.LBB5_473:                              ;   Parent Loop BB5_278 Depth=1
                                        ; =>  This Loop Header: Depth=2
                                        ;       Child Loop BB5_476 Depth 3
                                        ;       Child Loop BB5_483 Depth 3
                                        ;       Child Loop BB5_491 Depth 3
                                        ;       Child Loop BB5_499 Depth 3
                                        ;       Child Loop BB5_507 Depth 3
                                        ;       Child Loop BB5_515 Depth 3
                                        ;       Child Loop BB5_523 Depth 3
                                        ;       Child Loop BB5_531 Depth 3
                                        ;       Child Loop BB5_539 Depth 3
                                        ;       Child Loop BB5_548 Depth 3
                                        ;       Child Loop BB5_553 Depth 3
	v_cmp_lt_u64_e64 s[4:5], s[28:29], 56
	s_and_b64 s[4:5], s[4:5], exec
	v_cmp_gt_u64_e64 s[4:5], s[28:29], 7
	s_cselect_b32 s31, s29, 0
	s_cselect_b32 s30, s28, 56
	s_and_b64 vcc, exec, s[4:5]
	s_cbranch_vccnz .LBB5_478
; %bb.474:                              ;   in Loop: Header=BB5_473 Depth=2
	s_mov_b64 s[4:5], 0
	s_cmp_eq_u64 s[28:29], 0
	s_waitcnt vmcnt(0)
	v_pk_mov_b32 v[20:21], 0, 0
	s_cbranch_scc1 .LBB5_477
; %bb.475:                              ;   in Loop: Header=BB5_473 Depth=2
	s_lshl_b64 s[52:53], s[30:31], 3
	s_mov_b64 s[54:55], 0
	v_pk_mov_b32 v[20:21], 0, 0
	s_mov_b64 s[56:57], s[24:25]
.LBB5_476:                              ;   Parent Loop BB5_278 Depth=1
                                        ;     Parent Loop BB5_473 Depth=2
                                        ; =>    This Inner Loop Header: Depth=3
	global_load_ubyte v2, v3, s[56:57]
	s_waitcnt vmcnt(0)
	v_and_b32_e32 v2, 0xffff, v2
	v_lshlrev_b64 v[6:7], s54, v[2:3]
	s_add_u32 s54, s54, 8
	s_addc_u32 s55, s55, 0
	s_add_u32 s56, s56, 1
	s_addc_u32 s57, s57, 0
	v_or_b32_e32 v20, v6, v20
	s_cmp_lg_u32 s52, s54
	v_or_b32_e32 v21, v7, v21
	s_cbranch_scc1 .LBB5_476
.LBB5_477:                              ;   in Loop: Header=BB5_473 Depth=2
	s_mov_b32 s56, 0
	s_andn2_b64 vcc, exec, s[4:5]
	s_mov_b64 s[4:5], s[24:25]
	s_cbranch_vccz .LBB5_479
	s_branch .LBB5_480
.LBB5_478:                              ;   in Loop: Header=BB5_473 Depth=2
                                        ; implicit-def: $vgpr20_vgpr21
                                        ; implicit-def: $sgpr56
	s_mov_b64 s[4:5], s[24:25]
.LBB5_479:                              ;   in Loop: Header=BB5_473 Depth=2
	global_load_dwordx2 v[20:21], v3, s[24:25]
	s_add_i32 s56, s30, -8
	s_add_u32 s4, s24, 8
	s_addc_u32 s5, s25, 0
.LBB5_480:                              ;   in Loop: Header=BB5_473 Depth=2
	s_cmp_gt_u32 s56, 7
	s_cbranch_scc1 .LBB5_484
; %bb.481:                              ;   in Loop: Header=BB5_473 Depth=2
	s_cmp_eq_u32 s56, 0
	s_cbranch_scc1 .LBB5_485
; %bb.482:                              ;   in Loop: Header=BB5_473 Depth=2
	s_mov_b64 s[52:53], 0
	v_pk_mov_b32 v[22:23], 0, 0
	s_mov_b64 s[54:55], 0
.LBB5_483:                              ;   Parent Loop BB5_278 Depth=1
                                        ;     Parent Loop BB5_473 Depth=2
                                        ; =>    This Inner Loop Header: Depth=3
	s_add_u32 s58, s4, s54
	s_addc_u32 s59, s5, s55
	global_load_ubyte v2, v3, s[58:59]
	s_add_u32 s54, s54, 1
	s_addc_u32 s55, s55, 0
	s_waitcnt vmcnt(0)
	v_and_b32_e32 v2, 0xffff, v2
	v_lshlrev_b64 v[6:7], s52, v[2:3]
	s_add_u32 s52, s52, 8
	s_addc_u32 s53, s53, 0
	v_or_b32_e32 v22, v6, v22
	s_cmp_lg_u32 s56, s54
	v_or_b32_e32 v23, v7, v23
	s_cbranch_scc1 .LBB5_483
	s_branch .LBB5_486
.LBB5_484:                              ;   in Loop: Header=BB5_473 Depth=2
                                        ; implicit-def: $vgpr22_vgpr23
                                        ; implicit-def: $sgpr57
	s_branch .LBB5_487
.LBB5_485:                              ;   in Loop: Header=BB5_473 Depth=2
	v_pk_mov_b32 v[22:23], 0, 0
.LBB5_486:                              ;   in Loop: Header=BB5_473 Depth=2
	s_mov_b32 s57, 0
	s_cbranch_execnz .LBB5_488
.LBB5_487:                              ;   in Loop: Header=BB5_473 Depth=2
	global_load_dwordx2 v[22:23], v3, s[4:5]
	s_add_i32 s57, s56, -8
	s_add_u32 s4, s4, 8
	s_addc_u32 s5, s5, 0
.LBB5_488:                              ;   in Loop: Header=BB5_473 Depth=2
	s_cmp_gt_u32 s57, 7
	s_cbranch_scc1 .LBB5_492
; %bb.489:                              ;   in Loop: Header=BB5_473 Depth=2
	s_cmp_eq_u32 s57, 0
	s_cbranch_scc1 .LBB5_493
; %bb.490:                              ;   in Loop: Header=BB5_473 Depth=2
	s_mov_b64 s[52:53], 0
	v_pk_mov_b32 v[24:25], 0, 0
	s_mov_b64 s[54:55], 0
.LBB5_491:                              ;   Parent Loop BB5_278 Depth=1
                                        ;     Parent Loop BB5_473 Depth=2
                                        ; =>    This Inner Loop Header: Depth=3
	s_add_u32 s58, s4, s54
	s_addc_u32 s59, s5, s55
	global_load_ubyte v2, v3, s[58:59]
	s_add_u32 s54, s54, 1
	s_addc_u32 s55, s55, 0
	s_waitcnt vmcnt(0)
	v_and_b32_e32 v2, 0xffff, v2
	v_lshlrev_b64 v[6:7], s52, v[2:3]
	s_add_u32 s52, s52, 8
	s_addc_u32 s53, s53, 0
	v_or_b32_e32 v24, v6, v24
	s_cmp_lg_u32 s57, s54
	v_or_b32_e32 v25, v7, v25
	s_cbranch_scc1 .LBB5_491
	s_branch .LBB5_494
.LBB5_492:                              ;   in Loop: Header=BB5_473 Depth=2
                                        ; implicit-def: $sgpr56
	s_branch .LBB5_495
.LBB5_493:                              ;   in Loop: Header=BB5_473 Depth=2
	v_pk_mov_b32 v[24:25], 0, 0
.LBB5_494:                              ;   in Loop: Header=BB5_473 Depth=2
	s_mov_b32 s56, 0
	s_cbranch_execnz .LBB5_496
.LBB5_495:                              ;   in Loop: Header=BB5_473 Depth=2
	global_load_dwordx2 v[24:25], v3, s[4:5]
	s_add_i32 s56, s57, -8
	s_add_u32 s4, s4, 8
	s_addc_u32 s5, s5, 0
.LBB5_496:                              ;   in Loop: Header=BB5_473 Depth=2
	s_cmp_gt_u32 s56, 7
	s_cbranch_scc1 .LBB5_500
; %bb.497:                              ;   in Loop: Header=BB5_473 Depth=2
	s_cmp_eq_u32 s56, 0
	s_cbranch_scc1 .LBB5_501
; %bb.498:                              ;   in Loop: Header=BB5_473 Depth=2
	s_mov_b64 s[52:53], 0
	v_pk_mov_b32 v[26:27], 0, 0
	s_mov_b64 s[54:55], 0
.LBB5_499:                              ;   Parent Loop BB5_278 Depth=1
                                        ;     Parent Loop BB5_473 Depth=2
                                        ; =>    This Inner Loop Header: Depth=3
	s_add_u32 s58, s4, s54
	s_addc_u32 s59, s5, s55
	global_load_ubyte v2, v3, s[58:59]
	s_add_u32 s54, s54, 1
	s_addc_u32 s55, s55, 0
	s_waitcnt vmcnt(0)
	v_and_b32_e32 v2, 0xffff, v2
	v_lshlrev_b64 v[6:7], s52, v[2:3]
	s_add_u32 s52, s52, 8
	s_addc_u32 s53, s53, 0
	v_or_b32_e32 v26, v6, v26
	s_cmp_lg_u32 s56, s54
	v_or_b32_e32 v27, v7, v27
	s_cbranch_scc1 .LBB5_499
	s_branch .LBB5_502
.LBB5_500:                              ;   in Loop: Header=BB5_473 Depth=2
                                        ; implicit-def: $vgpr26_vgpr27
                                        ; implicit-def: $sgpr57
	s_branch .LBB5_503
.LBB5_501:                              ;   in Loop: Header=BB5_473 Depth=2
	v_pk_mov_b32 v[26:27], 0, 0
.LBB5_502:                              ;   in Loop: Header=BB5_473 Depth=2
	s_mov_b32 s57, 0
	s_cbranch_execnz .LBB5_504
.LBB5_503:                              ;   in Loop: Header=BB5_473 Depth=2
	global_load_dwordx2 v[26:27], v3, s[4:5]
	s_add_i32 s57, s56, -8
	s_add_u32 s4, s4, 8
	s_addc_u32 s5, s5, 0
.LBB5_504:                              ;   in Loop: Header=BB5_473 Depth=2
	s_cmp_gt_u32 s57, 7
	s_cbranch_scc1 .LBB5_508
; %bb.505:                              ;   in Loop: Header=BB5_473 Depth=2
	s_cmp_eq_u32 s57, 0
	s_cbranch_scc1 .LBB5_509
; %bb.506:                              ;   in Loop: Header=BB5_473 Depth=2
	s_mov_b64 s[52:53], 0
	v_pk_mov_b32 v[28:29], 0, 0
	s_mov_b64 s[54:55], 0
.LBB5_507:                              ;   Parent Loop BB5_278 Depth=1
                                        ;     Parent Loop BB5_473 Depth=2
                                        ; =>    This Inner Loop Header: Depth=3
	s_add_u32 s58, s4, s54
	s_addc_u32 s59, s5, s55
	global_load_ubyte v2, v3, s[58:59]
	s_add_u32 s54, s54, 1
	s_addc_u32 s55, s55, 0
	s_waitcnt vmcnt(0)
	v_and_b32_e32 v2, 0xffff, v2
	v_lshlrev_b64 v[6:7], s52, v[2:3]
	s_add_u32 s52, s52, 8
	s_addc_u32 s53, s53, 0
	v_or_b32_e32 v28, v6, v28
	s_cmp_lg_u32 s57, s54
	v_or_b32_e32 v29, v7, v29
	s_cbranch_scc1 .LBB5_507
	s_branch .LBB5_510
.LBB5_508:                              ;   in Loop: Header=BB5_473 Depth=2
                                        ; implicit-def: $sgpr56
	s_branch .LBB5_511
.LBB5_509:                              ;   in Loop: Header=BB5_473 Depth=2
	v_pk_mov_b32 v[28:29], 0, 0
.LBB5_510:                              ;   in Loop: Header=BB5_473 Depth=2
	s_mov_b32 s56, 0
	s_cbranch_execnz .LBB5_512
.LBB5_511:                              ;   in Loop: Header=BB5_473 Depth=2
	global_load_dwordx2 v[28:29], v3, s[4:5]
	s_add_i32 s56, s57, -8
	s_add_u32 s4, s4, 8
	s_addc_u32 s5, s5, 0
.LBB5_512:                              ;   in Loop: Header=BB5_473 Depth=2
	s_cmp_gt_u32 s56, 7
	s_cbranch_scc1 .LBB5_516
; %bb.513:                              ;   in Loop: Header=BB5_473 Depth=2
	s_cmp_eq_u32 s56, 0
	s_cbranch_scc1 .LBB5_517
; %bb.514:                              ;   in Loop: Header=BB5_473 Depth=2
	s_mov_b64 s[52:53], 0
	v_pk_mov_b32 v[30:31], 0, 0
	s_mov_b64 s[54:55], 0
.LBB5_515:                              ;   Parent Loop BB5_278 Depth=1
                                        ;     Parent Loop BB5_473 Depth=2
                                        ; =>    This Inner Loop Header: Depth=3
	s_add_u32 s58, s4, s54
	s_addc_u32 s59, s5, s55
	global_load_ubyte v2, v3, s[58:59]
	s_add_u32 s54, s54, 1
	s_addc_u32 s55, s55, 0
	s_waitcnt vmcnt(0)
	v_and_b32_e32 v2, 0xffff, v2
	v_lshlrev_b64 v[6:7], s52, v[2:3]
	s_add_u32 s52, s52, 8
	s_addc_u32 s53, s53, 0
	v_or_b32_e32 v30, v6, v30
	s_cmp_lg_u32 s56, s54
	v_or_b32_e32 v31, v7, v31
	s_cbranch_scc1 .LBB5_515
	s_branch .LBB5_518
.LBB5_516:                              ;   in Loop: Header=BB5_473 Depth=2
                                        ; implicit-def: $vgpr30_vgpr31
                                        ; implicit-def: $sgpr57
	s_branch .LBB5_519
.LBB5_517:                              ;   in Loop: Header=BB5_473 Depth=2
	v_pk_mov_b32 v[30:31], 0, 0
.LBB5_518:                              ;   in Loop: Header=BB5_473 Depth=2
	s_mov_b32 s57, 0
	s_cbranch_execnz .LBB5_520
.LBB5_519:                              ;   in Loop: Header=BB5_473 Depth=2
	global_load_dwordx2 v[30:31], v3, s[4:5]
	s_add_i32 s57, s56, -8
	s_add_u32 s4, s4, 8
	s_addc_u32 s5, s5, 0
.LBB5_520:                              ;   in Loop: Header=BB5_473 Depth=2
	s_cmp_gt_u32 s57, 7
	s_cbranch_scc1 .LBB5_524
; %bb.521:                              ;   in Loop: Header=BB5_473 Depth=2
	s_cmp_eq_u32 s57, 0
	s_cbranch_scc1 .LBB5_525
; %bb.522:                              ;   in Loop: Header=BB5_473 Depth=2
	s_mov_b64 s[52:53], 0
	v_pk_mov_b32 v[32:33], 0, 0
	s_mov_b64 s[54:55], s[4:5]
.LBB5_523:                              ;   Parent Loop BB5_278 Depth=1
                                        ;     Parent Loop BB5_473 Depth=2
                                        ; =>    This Inner Loop Header: Depth=3
	global_load_ubyte v2, v3, s[54:55]
	s_add_i32 s57, s57, -1
	s_waitcnt vmcnt(0)
	v_and_b32_e32 v2, 0xffff, v2
	v_lshlrev_b64 v[6:7], s52, v[2:3]
	s_add_u32 s52, s52, 8
	s_addc_u32 s53, s53, 0
	s_add_u32 s54, s54, 1
	s_addc_u32 s55, s55, 0
	v_or_b32_e32 v32, v6, v32
	s_cmp_lg_u32 s57, 0
	v_or_b32_e32 v33, v7, v33
	s_cbranch_scc1 .LBB5_523
	s_branch .LBB5_526
.LBB5_524:                              ;   in Loop: Header=BB5_473 Depth=2
	s_branch .LBB5_527
.LBB5_525:                              ;   in Loop: Header=BB5_473 Depth=2
	v_pk_mov_b32 v[32:33], 0, 0
.LBB5_526:                              ;   in Loop: Header=BB5_473 Depth=2
	s_cbranch_execnz .LBB5_528
.LBB5_527:                              ;   in Loop: Header=BB5_473 Depth=2
	global_load_dwordx2 v[32:33], v3, s[4:5]
.LBB5_528:                              ;   in Loop: Header=BB5_473 Depth=2
	v_readfirstlane_b32 s4, v51
	v_cmp_eq_u32_e64 s[4:5], s4, v51
	v_pk_mov_b32 v[6:7], 0, 0
	s_and_saveexec_b64 s[52:53], s[4:5]
	s_cbranch_execz .LBB5_534
; %bb.529:                              ;   in Loop: Header=BB5_473 Depth=2
	global_load_dwordx2 v[36:37], v3, s[34:35] offset:24 glc
	s_waitcnt vmcnt(0)
	buffer_invl2
	buffer_wbinvl1_vol
	global_load_dwordx2 v[6:7], v3, s[34:35] offset:40
	global_load_dwordx2 v[34:35], v3, s[34:35]
	s_waitcnt vmcnt(1)
	v_and_b32_e32 v2, v6, v36
	v_and_b32_e32 v5, v7, v37
	v_mul_lo_u32 v5, v5, 24
	v_mul_hi_u32 v6, v2, 24
	v_mul_lo_u32 v2, v2, 24
	v_add_u32_e32 v5, v6, v5
	s_waitcnt vmcnt(0)
	v_add_co_u32_e32 v6, vcc, v34, v2
	v_addc_co_u32_e32 v7, vcc, v35, v5, vcc
	global_load_dwordx2 v[34:35], v[6:7], off glc
	s_waitcnt vmcnt(0)
	global_atomic_cmpswap_x2 v[6:7], v3, v[34:37], s[34:35] offset:24 glc
	s_waitcnt vmcnt(0)
	buffer_invl2
	buffer_wbinvl1_vol
	v_cmp_ne_u64_e32 vcc, v[6:7], v[36:37]
	s_and_saveexec_b64 s[54:55], vcc
	s_cbranch_execz .LBB5_533
; %bb.530:                              ;   in Loop: Header=BB5_473 Depth=2
	s_mov_b64 s[56:57], 0
.LBB5_531:                              ;   Parent Loop BB5_278 Depth=1
                                        ;     Parent Loop BB5_473 Depth=2
                                        ; =>    This Inner Loop Header: Depth=3
	s_sleep 1
	global_load_dwordx2 v[34:35], v3, s[34:35] offset:40
	global_load_dwordx2 v[40:41], v3, s[34:35]
	v_pk_mov_b32 v[36:37], v[6:7], v[6:7] op_sel:[0,1]
	s_waitcnt vmcnt(1)
	v_and_b32_e32 v2, v34, v36
	s_waitcnt vmcnt(0)
	v_mad_u64_u32 v[6:7], s[58:59], v2, 24, v[40:41]
	v_and_b32_e32 v5, v35, v37
	v_mov_b32_e32 v2, v7
	v_mad_u64_u32 v[34:35], s[58:59], v5, 24, v[2:3]
	v_mov_b32_e32 v7, v34
	global_load_dwordx2 v[34:35], v[6:7], off glc
	s_waitcnt vmcnt(0)
	global_atomic_cmpswap_x2 v[6:7], v3, v[34:37], s[34:35] offset:24 glc
	s_waitcnt vmcnt(0)
	buffer_invl2
	buffer_wbinvl1_vol
	v_cmp_eq_u64_e32 vcc, v[6:7], v[36:37]
	s_or_b64 s[56:57], vcc, s[56:57]
	s_andn2_b64 exec, exec, s[56:57]
	s_cbranch_execnz .LBB5_531
; %bb.532:                              ;   in Loop: Header=BB5_473 Depth=2
	s_or_b64 exec, exec, s[56:57]
.LBB5_533:                              ;   in Loop: Header=BB5_473 Depth=2
	s_or_b64 exec, exec, s[54:55]
.LBB5_534:                              ;   in Loop: Header=BB5_473 Depth=2
	s_or_b64 exec, exec, s[52:53]
	global_load_dwordx2 v[40:41], v3, s[34:35] offset:40
	global_load_dwordx4 v[34:37], v3, s[34:35]
	v_readfirstlane_b32 s52, v6
	v_readfirstlane_b32 s53, v7
	s_mov_b64 s[54:55], exec
	s_waitcnt vmcnt(1)
	v_readfirstlane_b32 s56, v40
	v_readfirstlane_b32 s57, v41
	s_and_b64 s[56:57], s[52:53], s[56:57]
	s_mul_i32 s58, s57, 24
	s_mul_hi_u32 s59, s56, 24
	s_mul_i32 s62, s56, 24
	s_add_i32 s58, s59, s58
	v_mov_b32_e32 v2, s58
	s_waitcnt vmcnt(0)
	v_add_co_u32_e32 v40, vcc, s62, v34
	v_addc_co_u32_e32 v41, vcc, v35, v2, vcc
	s_and_saveexec_b64 s[58:59], s[4:5]
	s_cbranch_execz .LBB5_536
; %bb.535:                              ;   in Loop: Header=BB5_473 Depth=2
	v_pk_mov_b32 v[6:7], s[54:55], s[54:55] op_sel:[0,1]
	global_store_dwordx4 v[40:41], v[6:9], off offset:8
.LBB5_536:                              ;   in Loop: Header=BB5_473 Depth=2
	s_or_b64 exec, exec, s[58:59]
	s_lshl_b64 s[54:55], s[56:57], 12
	v_mov_b32_e32 v2, s55
	v_add_co_u32_e32 v6, vcc, s54, v36
	v_addc_co_u32_e32 v5, vcc, v37, v2, vcc
	v_or_b32_e32 v2, 0, v19
	v_or_b32_e32 v7, v18, v38
	v_cmp_gt_u64_e64 vcc, s[28:29], 56
	s_lshl_b32 s54, s30, 2
	v_cndmask_b32_e32 v19, v2, v19, vcc
	v_cndmask_b32_e32 v2, v7, v18, vcc
	s_add_i32 s54, s54, 28
	s_and_b32 s54, s54, 0x1e0
	v_and_b32_e32 v2, 0xffffff1f, v2
	v_or_b32_e32 v18, s54, v2
	v_readfirstlane_b32 s54, v6
	v_readfirstlane_b32 s55, v5
	s_nop 4
	global_store_dwordx4 v50, v[18:21], s[54:55]
	global_store_dwordx4 v50, v[22:25], s[54:55] offset:16
	global_store_dwordx4 v50, v[26:29], s[54:55] offset:32
	;; [unrolled: 1-line block ×3, first 2 shown]
	s_and_saveexec_b64 s[54:55], s[4:5]
	s_cbranch_execz .LBB5_544
; %bb.537:                              ;   in Loop: Header=BB5_473 Depth=2
	global_load_dwordx2 v[26:27], v3, s[34:35] offset:32 glc
	global_load_dwordx2 v[18:19], v3, s[34:35] offset:40
	v_mov_b32_e32 v24, s52
	v_mov_b32_e32 v25, s53
	s_waitcnt vmcnt(0)
	v_readfirstlane_b32 s56, v18
	v_readfirstlane_b32 s57, v19
	s_and_b64 s[56:57], s[56:57], s[52:53]
	s_mul_i32 s57, s57, 24
	s_mul_hi_u32 s58, s56, 24
	s_mul_i32 s56, s56, 24
	s_add_i32 s57, s58, s57
	v_mov_b32_e32 v2, s57
	v_add_co_u32_e32 v22, vcc, s56, v34
	v_addc_co_u32_e32 v23, vcc, v35, v2, vcc
	global_store_dwordx2 v[22:23], v[26:27], off
	buffer_wbl2
	s_waitcnt vmcnt(0)
	global_atomic_cmpswap_x2 v[20:21], v3, v[24:27], s[34:35] offset:32 glc
	s_waitcnt vmcnt(0)
	v_cmp_ne_u64_e32 vcc, v[20:21], v[26:27]
	s_and_saveexec_b64 s[56:57], vcc
	s_cbranch_execz .LBB5_540
; %bb.538:                              ;   in Loop: Header=BB5_473 Depth=2
	s_mov_b64 s[58:59], 0
.LBB5_539:                              ;   Parent Loop BB5_278 Depth=1
                                        ;     Parent Loop BB5_473 Depth=2
                                        ; =>    This Inner Loop Header: Depth=3
	s_sleep 1
	global_store_dwordx2 v[22:23], v[20:21], off
	v_mov_b32_e32 v18, s52
	v_mov_b32_e32 v19, s53
	buffer_wbl2
	s_waitcnt vmcnt(0)
	global_atomic_cmpswap_x2 v[18:19], v3, v[18:21], s[34:35] offset:32 glc
	s_waitcnt vmcnt(0)
	v_cmp_eq_u64_e32 vcc, v[18:19], v[20:21]
	s_or_b64 s[58:59], vcc, s[58:59]
	v_pk_mov_b32 v[20:21], v[18:19], v[18:19] op_sel:[0,1]
	s_andn2_b64 exec, exec, s[58:59]
	s_cbranch_execnz .LBB5_539
.LBB5_540:                              ;   in Loop: Header=BB5_473 Depth=2
	s_or_b64 exec, exec, s[56:57]
	global_load_dwordx2 v[18:19], v3, s[34:35] offset:16
	s_mov_b64 s[58:59], exec
	v_mbcnt_lo_u32_b32 v2, s58, 0
	v_mbcnt_hi_u32_b32 v2, s59, v2
	v_cmp_eq_u32_e32 vcc, 0, v2
	s_and_saveexec_b64 s[56:57], vcc
	s_cbranch_execz .LBB5_542
; %bb.541:                              ;   in Loop: Header=BB5_473 Depth=2
	s_bcnt1_i32_b64 s58, s[58:59]
	v_mov_b32_e32 v2, s58
	buffer_wbl2
	s_waitcnt vmcnt(0)
	global_atomic_add_x2 v[18:19], v[2:3], off offset:8
.LBB5_542:                              ;   in Loop: Header=BB5_473 Depth=2
	s_or_b64 exec, exec, s[56:57]
	s_waitcnt vmcnt(0)
	global_load_dwordx2 v[20:21], v[18:19], off offset:16
	s_waitcnt vmcnt(0)
	v_cmp_eq_u64_e32 vcc, 0, v[20:21]
	s_cbranch_vccnz .LBB5_544
; %bb.543:                              ;   in Loop: Header=BB5_473 Depth=2
	global_load_dword v2, v[18:19], off offset:24
	buffer_wbl2
	s_waitcnt vmcnt(0)
	global_store_dwordx2 v[20:21], v[2:3], off
	v_and_b32_e32 v2, 0xffffff, v2
	v_readfirstlane_b32 m0, v2
	s_sendmsg sendmsg(MSG_INTERRUPT)
.LBB5_544:                              ;   in Loop: Header=BB5_473 Depth=2
	s_or_b64 exec, exec, s[54:55]
	v_add_co_u32_e32 v6, vcc, v6, v50
	v_addc_co_u32_e32 v7, vcc, 0, v5, vcc
	s_branch .LBB5_548
.LBB5_545:                              ;   in Loop: Header=BB5_548 Depth=3
	s_or_b64 exec, exec, s[54:55]
	v_readfirstlane_b32 s54, v2
	s_cmp_eq_u32 s54, 0
	s_cbranch_scc1 .LBB5_547
; %bb.546:                              ;   in Loop: Header=BB5_548 Depth=3
	s_sleep 1
	s_cbranch_execnz .LBB5_548
	s_branch .LBB5_550
.LBB5_547:                              ;   in Loop: Header=BB5_473 Depth=2
	s_branch .LBB5_550
.LBB5_548:                              ;   Parent Loop BB5_278 Depth=1
                                        ;     Parent Loop BB5_473 Depth=2
                                        ; =>    This Inner Loop Header: Depth=3
	v_mov_b32_e32 v2, 1
	s_and_saveexec_b64 s[54:55], s[4:5]
	s_cbranch_execz .LBB5_545
; %bb.549:                              ;   in Loop: Header=BB5_548 Depth=3
	global_load_dword v2, v[40:41], off offset:20 glc
	s_waitcnt vmcnt(0)
	buffer_invl2
	buffer_wbinvl1_vol
	v_and_b32_e32 v2, 1, v2
	s_branch .LBB5_545
.LBB5_550:                              ;   in Loop: Header=BB5_473 Depth=2
	global_load_dwordx4 v[18:21], v[6:7], off
	s_and_saveexec_b64 s[54:55], s[4:5]
	s_cbranch_execz .LBB5_472
; %bb.551:                              ;   in Loop: Header=BB5_473 Depth=2
	global_load_dwordx2 v[6:7], v3, s[34:35] offset:40
	global_load_dwordx2 v[24:25], v3, s[34:35] offset:24 glc
	global_load_dwordx2 v[26:27], v3, s[34:35]
	v_mov_b32_e32 v2, s53
	s_waitcnt vmcnt(2)
	v_add_co_u32_e32 v5, vcc, 1, v6
	v_addc_co_u32_e32 v23, vcc, 0, v7, vcc
	v_add_co_u32_e32 v20, vcc, s52, v5
	v_addc_co_u32_e32 v21, vcc, v23, v2, vcc
	v_cmp_eq_u64_e32 vcc, 0, v[20:21]
	v_cndmask_b32_e32 v21, v21, v23, vcc
	v_cndmask_b32_e32 v20, v20, v5, vcc
	v_and_b32_e32 v2, v21, v7
	v_and_b32_e32 v5, v20, v6
	v_mul_lo_u32 v2, v2, 24
	v_mul_hi_u32 v6, v5, 24
	v_mul_lo_u32 v5, v5, 24
	v_add_u32_e32 v2, v6, v2
	s_waitcnt vmcnt(0)
	v_add_co_u32_e32 v6, vcc, v26, v5
	v_addc_co_u32_e32 v7, vcc, v27, v2, vcc
	v_mov_b32_e32 v22, v24
	global_store_dwordx2 v[6:7], v[24:25], off
	v_mov_b32_e32 v23, v25
	buffer_wbl2
	s_waitcnt vmcnt(0)
	global_atomic_cmpswap_x2 v[22:23], v3, v[20:23], s[34:35] offset:24 glc
	s_waitcnt vmcnt(0)
	v_cmp_ne_u64_e32 vcc, v[22:23], v[24:25]
	s_and_b64 exec, exec, vcc
	s_cbranch_execz .LBB5_472
; %bb.552:                              ;   in Loop: Header=BB5_473 Depth=2
	s_mov_b64 s[4:5], 0
.LBB5_553:                              ;   Parent Loop BB5_278 Depth=1
                                        ;     Parent Loop BB5_473 Depth=2
                                        ; =>    This Inner Loop Header: Depth=3
	s_sleep 1
	global_store_dwordx2 v[6:7], v[22:23], off
	buffer_wbl2
	s_waitcnt vmcnt(0)
	global_atomic_cmpswap_x2 v[24:25], v3, v[20:23], s[34:35] offset:24 glc
	s_waitcnt vmcnt(0)
	v_cmp_eq_u64_e32 vcc, v[24:25], v[22:23]
	s_or_b64 s[4:5], vcc, s[4:5]
	v_pk_mov_b32 v[22:23], v[24:25], v[24:25] op_sel:[0,1]
	s_andn2_b64 exec, exec, s[4:5]
	s_cbranch_execnz .LBB5_553
	s_branch .LBB5_472
.LBB5_554:                              ;   in Loop: Header=BB5_278 Depth=1
	s_branch .LBB5_584
.LBB5_555:                              ;   in Loop: Header=BB5_278 Depth=1
	s_cbranch_execnz .LBB5_728
	s_branch .LBB5_867
.LBB5_556:                              ;   in Loop: Header=BB5_278 Depth=1
                                        ; implicit-def: $vgpr18_vgpr19
	s_cbranch_execz .LBB5_584
; %bb.557:                              ;   in Loop: Header=BB5_278 Depth=1
	v_readfirstlane_b32 s4, v51
	v_cmp_eq_u32_e64 s[4:5], s4, v51
	v_pk_mov_b32 v[6:7], 0, 0
	s_and_saveexec_b64 s[24:25], s[4:5]
	s_cbranch_execz .LBB5_563
; %bb.558:                              ;   in Loop: Header=BB5_278 Depth=1
	global_load_dwordx2 v[20:21], v3, s[34:35] offset:24 glc
	s_waitcnt vmcnt(0)
	buffer_invl2
	buffer_wbinvl1_vol
	global_load_dwordx2 v[6:7], v3, s[34:35] offset:40
	global_load_dwordx2 v[18:19], v3, s[34:35]
	s_waitcnt vmcnt(1)
	v_and_b32_e32 v2, v6, v20
	v_and_b32_e32 v5, v7, v21
	v_mul_lo_u32 v5, v5, 24
	v_mul_hi_u32 v6, v2, 24
	v_mul_lo_u32 v2, v2, 24
	v_add_u32_e32 v5, v6, v5
	s_waitcnt vmcnt(0)
	v_add_co_u32_e32 v6, vcc, v18, v2
	v_addc_co_u32_e32 v7, vcc, v19, v5, vcc
	global_load_dwordx2 v[18:19], v[6:7], off glc
	s_waitcnt vmcnt(0)
	global_atomic_cmpswap_x2 v[6:7], v3, v[18:21], s[34:35] offset:24 glc
	s_waitcnt vmcnt(0)
	buffer_invl2
	buffer_wbinvl1_vol
	v_cmp_ne_u64_e32 vcc, v[6:7], v[20:21]
	s_and_saveexec_b64 s[28:29], vcc
	s_cbranch_execz .LBB5_562
; %bb.559:                              ;   in Loop: Header=BB5_278 Depth=1
	s_mov_b64 s[30:31], 0
.LBB5_560:                              ;   Parent Loop BB5_278 Depth=1
                                        ; =>  This Inner Loop Header: Depth=2
	s_sleep 1
	global_load_dwordx2 v[18:19], v3, s[34:35] offset:40
	global_load_dwordx2 v[22:23], v3, s[34:35]
	v_pk_mov_b32 v[20:21], v[6:7], v[6:7] op_sel:[0,1]
	s_waitcnt vmcnt(1)
	v_and_b32_e32 v2, v18, v20
	s_waitcnt vmcnt(0)
	v_mad_u64_u32 v[6:7], s[52:53], v2, 24, v[22:23]
	v_and_b32_e32 v5, v19, v21
	v_mov_b32_e32 v2, v7
	v_mad_u64_u32 v[18:19], s[52:53], v5, 24, v[2:3]
	v_mov_b32_e32 v7, v18
	global_load_dwordx2 v[18:19], v[6:7], off glc
	s_waitcnt vmcnt(0)
	global_atomic_cmpswap_x2 v[6:7], v3, v[18:21], s[34:35] offset:24 glc
	s_waitcnt vmcnt(0)
	buffer_invl2
	buffer_wbinvl1_vol
	v_cmp_eq_u64_e32 vcc, v[6:7], v[20:21]
	s_or_b64 s[30:31], vcc, s[30:31]
	s_andn2_b64 exec, exec, s[30:31]
	s_cbranch_execnz .LBB5_560
; %bb.561:                              ;   in Loop: Header=BB5_278 Depth=1
	s_or_b64 exec, exec, s[30:31]
.LBB5_562:                              ;   in Loop: Header=BB5_278 Depth=1
	s_or_b64 exec, exec, s[28:29]
.LBB5_563:                              ;   in Loop: Header=BB5_278 Depth=1
	s_or_b64 exec, exec, s[24:25]
	global_load_dwordx2 v[22:23], v3, s[34:35] offset:40
	global_load_dwordx4 v[18:21], v3, s[34:35]
	v_readfirstlane_b32 s24, v6
	v_readfirstlane_b32 s25, v7
	s_mov_b64 s[28:29], exec
	s_waitcnt vmcnt(1)
	v_readfirstlane_b32 s30, v22
	v_readfirstlane_b32 s31, v23
	s_and_b64 s[30:31], s[24:25], s[30:31]
	s_mul_i32 s52, s31, 24
	s_mul_hi_u32 s53, s30, 24
	s_mul_i32 s54, s30, 24
	s_add_i32 s52, s53, s52
	v_mov_b32_e32 v2, s52
	s_waitcnt vmcnt(0)
	v_add_co_u32_e32 v22, vcc, s54, v18
	v_addc_co_u32_e32 v23, vcc, v19, v2, vcc
	s_and_saveexec_b64 s[52:53], s[4:5]
	s_cbranch_execz .LBB5_565
; %bb.564:                              ;   in Loop: Header=BB5_278 Depth=1
	v_pk_mov_b32 v[6:7], s[28:29], s[28:29] op_sel:[0,1]
	global_store_dwordx4 v[22:23], v[6:9], off offset:8
.LBB5_565:                              ;   in Loop: Header=BB5_278 Depth=1
	s_or_b64 exec, exec, s[52:53]
	s_lshl_b64 s[28:29], s[30:31], 12
	v_mov_b32_e32 v2, s29
	v_add_co_u32_e32 v6, vcc, s28, v20
	v_addc_co_u32_e32 v5, vcc, v21, v2, vcc
	v_pk_mov_b32 v[26:27], s[10:11], s[10:11] op_sel:[0,1]
	v_and_or_b32 v0, v0, s33, 32
	v_mov_b32_e32 v2, v3
	v_readfirstlane_b32 s28, v6
	v_readfirstlane_b32 s29, v5
	v_pk_mov_b32 v[24:25], s[8:9], s[8:9] op_sel:[0,1]
	s_nop 3
	global_store_dwordx4 v50, v[0:3], s[28:29]
	global_store_dwordx4 v50, v[24:27], s[28:29] offset:16
	global_store_dwordx4 v50, v[24:27], s[28:29] offset:32
	;; [unrolled: 1-line block ×3, first 2 shown]
	s_and_saveexec_b64 s[28:29], s[4:5]
	s_cbranch_execz .LBB5_573
; %bb.566:                              ;   in Loop: Header=BB5_278 Depth=1
	global_load_dwordx2 v[26:27], v3, s[34:35] offset:32 glc
	global_load_dwordx2 v[0:1], v3, s[34:35] offset:40
	v_mov_b32_e32 v24, s24
	v_mov_b32_e32 v25, s25
	s_waitcnt vmcnt(0)
	v_readfirstlane_b32 s30, v0
	v_readfirstlane_b32 s31, v1
	s_and_b64 s[30:31], s[30:31], s[24:25]
	s_mul_i32 s31, s31, 24
	s_mul_hi_u32 s52, s30, 24
	s_mul_i32 s30, s30, 24
	s_add_i32 s31, s52, s31
	v_mov_b32_e32 v1, s31
	v_add_co_u32_e32 v0, vcc, s30, v18
	v_addc_co_u32_e32 v1, vcc, v19, v1, vcc
	global_store_dwordx2 v[0:1], v[26:27], off
	buffer_wbl2
	s_waitcnt vmcnt(0)
	global_atomic_cmpswap_x2 v[20:21], v3, v[24:27], s[34:35] offset:32 glc
	s_waitcnt vmcnt(0)
	v_cmp_ne_u64_e32 vcc, v[20:21], v[26:27]
	s_and_saveexec_b64 s[30:31], vcc
	s_cbranch_execz .LBB5_569
; %bb.567:                              ;   in Loop: Header=BB5_278 Depth=1
	s_mov_b64 s[52:53], 0
.LBB5_568:                              ;   Parent Loop BB5_278 Depth=1
                                        ; =>  This Inner Loop Header: Depth=2
	s_sleep 1
	global_store_dwordx2 v[0:1], v[20:21], off
	v_mov_b32_e32 v18, s24
	v_mov_b32_e32 v19, s25
	buffer_wbl2
	s_waitcnt vmcnt(0)
	global_atomic_cmpswap_x2 v[18:19], v3, v[18:21], s[34:35] offset:32 glc
	s_waitcnt vmcnt(0)
	v_cmp_eq_u64_e32 vcc, v[18:19], v[20:21]
	s_or_b64 s[52:53], vcc, s[52:53]
	v_pk_mov_b32 v[20:21], v[18:19], v[18:19] op_sel:[0,1]
	s_andn2_b64 exec, exec, s[52:53]
	s_cbranch_execnz .LBB5_568
.LBB5_569:                              ;   in Loop: Header=BB5_278 Depth=1
	s_or_b64 exec, exec, s[30:31]
	global_load_dwordx2 v[0:1], v3, s[34:35] offset:16
	s_mov_b64 s[52:53], exec
	v_mbcnt_lo_u32_b32 v2, s52, 0
	v_mbcnt_hi_u32_b32 v2, s53, v2
	v_cmp_eq_u32_e32 vcc, 0, v2
	s_and_saveexec_b64 s[30:31], vcc
	s_cbranch_execz .LBB5_571
; %bb.570:                              ;   in Loop: Header=BB5_278 Depth=1
	s_bcnt1_i32_b64 s52, s[52:53]
	v_mov_b32_e32 v2, s52
	buffer_wbl2
	s_waitcnt vmcnt(0)
	global_atomic_add_x2 v[0:1], v[2:3], off offset:8
.LBB5_571:                              ;   in Loop: Header=BB5_278 Depth=1
	s_or_b64 exec, exec, s[30:31]
	s_waitcnt vmcnt(0)
	global_load_dwordx2 v[18:19], v[0:1], off offset:16
	s_waitcnt vmcnt(0)
	v_cmp_eq_u64_e32 vcc, 0, v[18:19]
	s_cbranch_vccnz .LBB5_573
; %bb.572:                              ;   in Loop: Header=BB5_278 Depth=1
	global_load_dword v2, v[0:1], off offset:24
	s_waitcnt vmcnt(0)
	v_and_b32_e32 v0, 0xffffff, v2
	v_readfirstlane_b32 m0, v0
	buffer_wbl2
	global_store_dwordx2 v[18:19], v[2:3], off
	s_sendmsg sendmsg(MSG_INTERRUPT)
.LBB5_573:                              ;   in Loop: Header=BB5_278 Depth=1
	s_or_b64 exec, exec, s[28:29]
	v_add_co_u32_e32 v0, vcc, v6, v50
	v_addc_co_u32_e32 v1, vcc, 0, v5, vcc
	s_branch .LBB5_577
.LBB5_574:                              ;   in Loop: Header=BB5_577 Depth=2
	s_or_b64 exec, exec, s[28:29]
	v_readfirstlane_b32 s28, v2
	s_cmp_eq_u32 s28, 0
	s_cbranch_scc1 .LBB5_576
; %bb.575:                              ;   in Loop: Header=BB5_577 Depth=2
	s_sleep 1
	s_cbranch_execnz .LBB5_577
	s_branch .LBB5_579
.LBB5_576:                              ;   in Loop: Header=BB5_278 Depth=1
	s_branch .LBB5_579
.LBB5_577:                              ;   Parent Loop BB5_278 Depth=1
                                        ; =>  This Inner Loop Header: Depth=2
	v_mov_b32_e32 v2, 1
	s_and_saveexec_b64 s[28:29], s[4:5]
	s_cbranch_execz .LBB5_574
; %bb.578:                              ;   in Loop: Header=BB5_577 Depth=2
	global_load_dword v2, v[22:23], off offset:20 glc
	s_waitcnt vmcnt(0)
	buffer_invl2
	buffer_wbinvl1_vol
	v_and_b32_e32 v2, 1, v2
	s_branch .LBB5_574
.LBB5_579:                              ;   in Loop: Header=BB5_278 Depth=1
	global_load_dwordx2 v[18:19], v[0:1], off
	s_and_saveexec_b64 s[28:29], s[4:5]
	s_cbranch_execz .LBB5_583
; %bb.580:                              ;   in Loop: Header=BB5_278 Depth=1
	global_load_dwordx2 v[0:1], v3, s[34:35] offset:40
	global_load_dwordx2 v[6:7], v3, s[34:35] offset:24 glc
	global_load_dwordx2 v[24:25], v3, s[34:35]
	v_mov_b32_e32 v2, s25
	s_waitcnt vmcnt(2)
	v_add_co_u32_e32 v5, vcc, 1, v0
	v_addc_co_u32_e32 v23, vcc, 0, v1, vcc
	v_add_co_u32_e32 v20, vcc, s24, v5
	v_addc_co_u32_e32 v21, vcc, v23, v2, vcc
	v_cmp_eq_u64_e32 vcc, 0, v[20:21]
	v_cndmask_b32_e32 v21, v21, v23, vcc
	v_cndmask_b32_e32 v20, v20, v5, vcc
	v_and_b32_e32 v1, v21, v1
	v_and_b32_e32 v0, v20, v0
	v_mul_lo_u32 v1, v1, 24
	v_mul_hi_u32 v2, v0, 24
	v_mul_lo_u32 v0, v0, 24
	v_add_u32_e32 v1, v2, v1
	s_waitcnt vmcnt(0)
	v_add_co_u32_e32 v0, vcc, v24, v0
	v_addc_co_u32_e32 v1, vcc, v25, v1, vcc
	v_mov_b32_e32 v22, v6
	global_store_dwordx2 v[0:1], v[6:7], off
	v_mov_b32_e32 v23, v7
	buffer_wbl2
	s_waitcnt vmcnt(0)
	global_atomic_cmpswap_x2 v[22:23], v3, v[20:23], s[34:35] offset:24 glc
	s_waitcnt vmcnt(0)
	v_cmp_ne_u64_e32 vcc, v[22:23], v[6:7]
	s_and_b64 exec, exec, vcc
	s_cbranch_execz .LBB5_583
; %bb.581:                              ;   in Loop: Header=BB5_278 Depth=1
	s_mov_b64 s[4:5], 0
.LBB5_582:                              ;   Parent Loop BB5_278 Depth=1
                                        ; =>  This Inner Loop Header: Depth=2
	s_sleep 1
	global_store_dwordx2 v[0:1], v[22:23], off
	buffer_wbl2
	s_waitcnt vmcnt(0)
	global_atomic_cmpswap_x2 v[6:7], v3, v[20:23], s[34:35] offset:24 glc
	s_waitcnt vmcnt(0)
	v_cmp_eq_u64_e32 vcc, v[6:7], v[22:23]
	s_or_b64 s[4:5], vcc, s[4:5]
	v_pk_mov_b32 v[22:23], v[6:7], v[6:7] op_sel:[0,1]
	s_andn2_b64 exec, exec, s[4:5]
	s_cbranch_execnz .LBB5_582
.LBB5_583:                              ;   in Loop: Header=BB5_278 Depth=1
	s_or_b64 exec, exec, s[28:29]
.LBB5_584:                              ;   in Loop: Header=BB5_278 Depth=1
	s_and_b32 s28, s61, 1
	s_getpc_b64 s[4:5]
	s_add_u32 s4, s4, .str.5@rel32@lo+4
	s_addc_u32 s5, s5, .str.5@rel32@hi+12
	s_getpc_b64 s[24:25]
	s_add_u32 s24, s24, .str.4@rel32@lo+4
	s_addc_u32 s25, s25, .str.4@rel32@hi+12
	s_cmp_eq_u32 s28, 0
	s_cselect_b32 s25, s5, s25
	s_cselect_b32 s24, s4, s24
	s_cmp_lg_u64 s[24:25], 0
	s_cselect_b64 s[4:5], -1, 0
	s_cmp_eq_u64 s[24:25], 0
	s_mov_b64 s[28:29], 0
	s_cbranch_scc1 .LBB5_588
; %bb.585:                              ;   in Loop: Header=BB5_278 Depth=1
	s_add_u32 s28, s24, -1
	s_addc_u32 s29, s25, -1
.LBB5_586:                              ;   Parent Loop BB5_278 Depth=1
                                        ; =>  This Inner Loop Header: Depth=2
	global_load_ubyte v0, v3, s[28:29] offset:1
	s_add_u32 s30, s28, 1
	s_addc_u32 s31, s29, 0
	s_mov_b64 s[28:29], s[30:31]
	s_waitcnt vmcnt(0)
	v_cmp_ne_u16_e32 vcc, 0, v0
	s_cbranch_vccnz .LBB5_586
; %bb.587:                              ;   in Loop: Header=BB5_278 Depth=1
	s_sub_u32 s28, s30, s24
	s_subb_u32 s29, s31, s25
	s_add_u32 s28, s28, 1
	s_addc_u32 s29, s29, 0
.LBB5_588:                              ;   in Loop: Header=BB5_278 Depth=1
	s_and_b64 vcc, exec, s[4:5]
	s_cbranch_vccz .LBB5_673
; %bb.589:                              ;   in Loop: Header=BB5_278 Depth=1
	s_waitcnt vmcnt(0)
	v_and_b32_e32 v0, 2, v18
	v_and_b32_e32 v20, -3, v18
	v_mov_b32_e32 v21, v19
	s_branch .LBB5_591
.LBB5_590:                              ;   in Loop: Header=BB5_591 Depth=2
	s_or_b64 exec, exec, s[54:55]
	s_sub_u32 s28, s28, s30
	s_subb_u32 s29, s29, s31
	s_add_u32 s24, s24, s30
	s_addc_u32 s25, s25, s31
	s_cmp_lg_u64 s[28:29], 0
	s_cbranch_scc0 .LBB5_672
.LBB5_591:                              ;   Parent Loop BB5_278 Depth=1
                                        ; =>  This Loop Header: Depth=2
                                        ;       Child Loop BB5_594 Depth 3
                                        ;       Child Loop BB5_601 Depth 3
	;; [unrolled: 1-line block ×11, first 2 shown]
	v_cmp_lt_u64_e64 s[4:5], s[28:29], 56
	s_and_b64 s[4:5], s[4:5], exec
	v_cmp_gt_u64_e64 s[4:5], s[28:29], 7
	s_cselect_b32 s31, s29, 0
	s_cselect_b32 s30, s28, 56
	s_and_b64 vcc, exec, s[4:5]
	s_cbranch_vccnz .LBB5_596
; %bb.592:                              ;   in Loop: Header=BB5_591 Depth=2
	s_mov_b64 s[4:5], 0
	s_cmp_eq_u64 s[28:29], 0
	s_waitcnt vmcnt(0)
	v_pk_mov_b32 v[22:23], 0, 0
	s_cbranch_scc1 .LBB5_595
; %bb.593:                              ;   in Loop: Header=BB5_591 Depth=2
	s_lshl_b64 s[52:53], s[30:31], 3
	s_mov_b64 s[54:55], 0
	v_pk_mov_b32 v[22:23], 0, 0
	s_mov_b64 s[56:57], s[24:25]
.LBB5_594:                              ;   Parent Loop BB5_278 Depth=1
                                        ;     Parent Loop BB5_591 Depth=2
                                        ; =>    This Inner Loop Header: Depth=3
	global_load_ubyte v1, v3, s[56:57]
	s_waitcnt vmcnt(0)
	v_and_b32_e32 v2, 0xffff, v1
	v_lshlrev_b64 v[6:7], s54, v[2:3]
	s_add_u32 s54, s54, 8
	s_addc_u32 s55, s55, 0
	s_add_u32 s56, s56, 1
	s_addc_u32 s57, s57, 0
	v_or_b32_e32 v22, v6, v22
	s_cmp_lg_u32 s52, s54
	v_or_b32_e32 v23, v7, v23
	s_cbranch_scc1 .LBB5_594
.LBB5_595:                              ;   in Loop: Header=BB5_591 Depth=2
	s_mov_b32 s56, 0
	s_andn2_b64 vcc, exec, s[4:5]
	s_mov_b64 s[4:5], s[24:25]
	s_cbranch_vccz .LBB5_597
	s_branch .LBB5_598
.LBB5_596:                              ;   in Loop: Header=BB5_591 Depth=2
                                        ; implicit-def: $vgpr22_vgpr23
                                        ; implicit-def: $sgpr56
	s_mov_b64 s[4:5], s[24:25]
.LBB5_597:                              ;   in Loop: Header=BB5_591 Depth=2
	global_load_dwordx2 v[22:23], v3, s[24:25]
	s_add_i32 s56, s30, -8
	s_add_u32 s4, s24, 8
	s_addc_u32 s5, s25, 0
.LBB5_598:                              ;   in Loop: Header=BB5_591 Depth=2
	s_cmp_gt_u32 s56, 7
	s_cbranch_scc1 .LBB5_602
; %bb.599:                              ;   in Loop: Header=BB5_591 Depth=2
	s_cmp_eq_u32 s56, 0
	s_cbranch_scc1 .LBB5_603
; %bb.600:                              ;   in Loop: Header=BB5_591 Depth=2
	s_mov_b64 s[52:53], 0
	v_pk_mov_b32 v[24:25], 0, 0
	s_mov_b64 s[54:55], 0
.LBB5_601:                              ;   Parent Loop BB5_278 Depth=1
                                        ;     Parent Loop BB5_591 Depth=2
                                        ; =>    This Inner Loop Header: Depth=3
	s_add_u32 s58, s4, s54
	s_addc_u32 s59, s5, s55
	global_load_ubyte v1, v3, s[58:59]
	s_add_u32 s54, s54, 1
	s_addc_u32 s55, s55, 0
	s_waitcnt vmcnt(0)
	v_and_b32_e32 v2, 0xffff, v1
	v_lshlrev_b64 v[6:7], s52, v[2:3]
	s_add_u32 s52, s52, 8
	s_addc_u32 s53, s53, 0
	v_or_b32_e32 v24, v6, v24
	s_cmp_lg_u32 s56, s54
	v_or_b32_e32 v25, v7, v25
	s_cbranch_scc1 .LBB5_601
	s_branch .LBB5_604
.LBB5_602:                              ;   in Loop: Header=BB5_591 Depth=2
                                        ; implicit-def: $vgpr24_vgpr25
                                        ; implicit-def: $sgpr57
	s_branch .LBB5_605
.LBB5_603:                              ;   in Loop: Header=BB5_591 Depth=2
	v_pk_mov_b32 v[24:25], 0, 0
.LBB5_604:                              ;   in Loop: Header=BB5_591 Depth=2
	s_mov_b32 s57, 0
	s_cbranch_execnz .LBB5_606
.LBB5_605:                              ;   in Loop: Header=BB5_591 Depth=2
	global_load_dwordx2 v[24:25], v3, s[4:5]
	s_add_i32 s57, s56, -8
	s_add_u32 s4, s4, 8
	s_addc_u32 s5, s5, 0
.LBB5_606:                              ;   in Loop: Header=BB5_591 Depth=2
	s_cmp_gt_u32 s57, 7
	s_cbranch_scc1 .LBB5_610
; %bb.607:                              ;   in Loop: Header=BB5_591 Depth=2
	s_cmp_eq_u32 s57, 0
	s_cbranch_scc1 .LBB5_611
; %bb.608:                              ;   in Loop: Header=BB5_591 Depth=2
	s_mov_b64 s[52:53], 0
	v_pk_mov_b32 v[26:27], 0, 0
	s_mov_b64 s[54:55], 0
.LBB5_609:                              ;   Parent Loop BB5_278 Depth=1
                                        ;     Parent Loop BB5_591 Depth=2
                                        ; =>    This Inner Loop Header: Depth=3
	s_add_u32 s58, s4, s54
	s_addc_u32 s59, s5, s55
	global_load_ubyte v1, v3, s[58:59]
	s_add_u32 s54, s54, 1
	s_addc_u32 s55, s55, 0
	s_waitcnt vmcnt(0)
	v_and_b32_e32 v2, 0xffff, v1
	v_lshlrev_b64 v[6:7], s52, v[2:3]
	s_add_u32 s52, s52, 8
	s_addc_u32 s53, s53, 0
	v_or_b32_e32 v26, v6, v26
	s_cmp_lg_u32 s57, s54
	v_or_b32_e32 v27, v7, v27
	s_cbranch_scc1 .LBB5_609
	s_branch .LBB5_612
.LBB5_610:                              ;   in Loop: Header=BB5_591 Depth=2
                                        ; implicit-def: $sgpr56
	s_branch .LBB5_613
.LBB5_611:                              ;   in Loop: Header=BB5_591 Depth=2
	v_pk_mov_b32 v[26:27], 0, 0
.LBB5_612:                              ;   in Loop: Header=BB5_591 Depth=2
	s_mov_b32 s56, 0
	s_cbranch_execnz .LBB5_614
.LBB5_613:                              ;   in Loop: Header=BB5_591 Depth=2
	global_load_dwordx2 v[26:27], v3, s[4:5]
	s_add_i32 s56, s57, -8
	s_add_u32 s4, s4, 8
	s_addc_u32 s5, s5, 0
.LBB5_614:                              ;   in Loop: Header=BB5_591 Depth=2
	s_cmp_gt_u32 s56, 7
	s_cbranch_scc1 .LBB5_618
; %bb.615:                              ;   in Loop: Header=BB5_591 Depth=2
	s_cmp_eq_u32 s56, 0
	s_cbranch_scc1 .LBB5_619
; %bb.616:                              ;   in Loop: Header=BB5_591 Depth=2
	s_mov_b64 s[52:53], 0
	v_pk_mov_b32 v[28:29], 0, 0
	s_mov_b64 s[54:55], 0
.LBB5_617:                              ;   Parent Loop BB5_278 Depth=1
                                        ;     Parent Loop BB5_591 Depth=2
                                        ; =>    This Inner Loop Header: Depth=3
	s_add_u32 s58, s4, s54
	s_addc_u32 s59, s5, s55
	global_load_ubyte v1, v3, s[58:59]
	s_add_u32 s54, s54, 1
	s_addc_u32 s55, s55, 0
	s_waitcnt vmcnt(0)
	v_and_b32_e32 v2, 0xffff, v1
	v_lshlrev_b64 v[6:7], s52, v[2:3]
	s_add_u32 s52, s52, 8
	s_addc_u32 s53, s53, 0
	v_or_b32_e32 v28, v6, v28
	s_cmp_lg_u32 s56, s54
	v_or_b32_e32 v29, v7, v29
	s_cbranch_scc1 .LBB5_617
	s_branch .LBB5_620
.LBB5_618:                              ;   in Loop: Header=BB5_591 Depth=2
                                        ; implicit-def: $vgpr28_vgpr29
                                        ; implicit-def: $sgpr57
	s_branch .LBB5_621
.LBB5_619:                              ;   in Loop: Header=BB5_591 Depth=2
	v_pk_mov_b32 v[28:29], 0, 0
.LBB5_620:                              ;   in Loop: Header=BB5_591 Depth=2
	s_mov_b32 s57, 0
	s_cbranch_execnz .LBB5_622
.LBB5_621:                              ;   in Loop: Header=BB5_591 Depth=2
	global_load_dwordx2 v[28:29], v3, s[4:5]
	s_add_i32 s57, s56, -8
	s_add_u32 s4, s4, 8
	s_addc_u32 s5, s5, 0
.LBB5_622:                              ;   in Loop: Header=BB5_591 Depth=2
	s_cmp_gt_u32 s57, 7
	s_cbranch_scc1 .LBB5_626
; %bb.623:                              ;   in Loop: Header=BB5_591 Depth=2
	s_cmp_eq_u32 s57, 0
	s_cbranch_scc1 .LBB5_627
; %bb.624:                              ;   in Loop: Header=BB5_591 Depth=2
	s_mov_b64 s[52:53], 0
	v_pk_mov_b32 v[30:31], 0, 0
	s_mov_b64 s[54:55], 0
.LBB5_625:                              ;   Parent Loop BB5_278 Depth=1
                                        ;     Parent Loop BB5_591 Depth=2
                                        ; =>    This Inner Loop Header: Depth=3
	s_add_u32 s58, s4, s54
	s_addc_u32 s59, s5, s55
	global_load_ubyte v1, v3, s[58:59]
	s_add_u32 s54, s54, 1
	s_addc_u32 s55, s55, 0
	s_waitcnt vmcnt(0)
	v_and_b32_e32 v2, 0xffff, v1
	v_lshlrev_b64 v[6:7], s52, v[2:3]
	s_add_u32 s52, s52, 8
	s_addc_u32 s53, s53, 0
	v_or_b32_e32 v30, v6, v30
	s_cmp_lg_u32 s57, s54
	v_or_b32_e32 v31, v7, v31
	s_cbranch_scc1 .LBB5_625
	s_branch .LBB5_628
.LBB5_626:                              ;   in Loop: Header=BB5_591 Depth=2
                                        ; implicit-def: $sgpr56
	s_branch .LBB5_629
.LBB5_627:                              ;   in Loop: Header=BB5_591 Depth=2
	v_pk_mov_b32 v[30:31], 0, 0
.LBB5_628:                              ;   in Loop: Header=BB5_591 Depth=2
	s_mov_b32 s56, 0
	s_cbranch_execnz .LBB5_630
.LBB5_629:                              ;   in Loop: Header=BB5_591 Depth=2
	global_load_dwordx2 v[30:31], v3, s[4:5]
	s_add_i32 s56, s57, -8
	s_add_u32 s4, s4, 8
	s_addc_u32 s5, s5, 0
.LBB5_630:                              ;   in Loop: Header=BB5_591 Depth=2
	s_cmp_gt_u32 s56, 7
	s_cbranch_scc1 .LBB5_634
; %bb.631:                              ;   in Loop: Header=BB5_591 Depth=2
	s_cmp_eq_u32 s56, 0
	s_cbranch_scc1 .LBB5_635
; %bb.632:                              ;   in Loop: Header=BB5_591 Depth=2
	s_mov_b64 s[52:53], 0
	v_pk_mov_b32 v[32:33], 0, 0
	s_mov_b64 s[54:55], 0
.LBB5_633:                              ;   Parent Loop BB5_278 Depth=1
                                        ;     Parent Loop BB5_591 Depth=2
                                        ; =>    This Inner Loop Header: Depth=3
	s_add_u32 s58, s4, s54
	s_addc_u32 s59, s5, s55
	global_load_ubyte v1, v3, s[58:59]
	s_add_u32 s54, s54, 1
	s_addc_u32 s55, s55, 0
	s_waitcnt vmcnt(0)
	v_and_b32_e32 v2, 0xffff, v1
	v_lshlrev_b64 v[6:7], s52, v[2:3]
	s_add_u32 s52, s52, 8
	s_addc_u32 s53, s53, 0
	v_or_b32_e32 v32, v6, v32
	s_cmp_lg_u32 s56, s54
	v_or_b32_e32 v33, v7, v33
	s_cbranch_scc1 .LBB5_633
	s_branch .LBB5_636
.LBB5_634:                              ;   in Loop: Header=BB5_591 Depth=2
                                        ; implicit-def: $vgpr32_vgpr33
                                        ; implicit-def: $sgpr57
	s_branch .LBB5_637
.LBB5_635:                              ;   in Loop: Header=BB5_591 Depth=2
	v_pk_mov_b32 v[32:33], 0, 0
.LBB5_636:                              ;   in Loop: Header=BB5_591 Depth=2
	s_mov_b32 s57, 0
	s_cbranch_execnz .LBB5_638
.LBB5_637:                              ;   in Loop: Header=BB5_591 Depth=2
	global_load_dwordx2 v[32:33], v3, s[4:5]
	s_add_i32 s57, s56, -8
	s_add_u32 s4, s4, 8
	s_addc_u32 s5, s5, 0
.LBB5_638:                              ;   in Loop: Header=BB5_591 Depth=2
	s_cmp_gt_u32 s57, 7
	s_cbranch_scc1 .LBB5_642
; %bb.639:                              ;   in Loop: Header=BB5_591 Depth=2
	s_cmp_eq_u32 s57, 0
	s_cbranch_scc1 .LBB5_643
; %bb.640:                              ;   in Loop: Header=BB5_591 Depth=2
	s_mov_b64 s[52:53], 0
	v_pk_mov_b32 v[34:35], 0, 0
	s_mov_b64 s[54:55], s[4:5]
.LBB5_641:                              ;   Parent Loop BB5_278 Depth=1
                                        ;     Parent Loop BB5_591 Depth=2
                                        ; =>    This Inner Loop Header: Depth=3
	global_load_ubyte v1, v3, s[54:55]
	s_add_i32 s57, s57, -1
	s_waitcnt vmcnt(0)
	v_and_b32_e32 v2, 0xffff, v1
	v_lshlrev_b64 v[6:7], s52, v[2:3]
	s_add_u32 s52, s52, 8
	s_addc_u32 s53, s53, 0
	s_add_u32 s54, s54, 1
	s_addc_u32 s55, s55, 0
	v_or_b32_e32 v34, v6, v34
	s_cmp_lg_u32 s57, 0
	v_or_b32_e32 v35, v7, v35
	s_cbranch_scc1 .LBB5_641
	s_branch .LBB5_644
.LBB5_642:                              ;   in Loop: Header=BB5_591 Depth=2
	s_branch .LBB5_645
.LBB5_643:                              ;   in Loop: Header=BB5_591 Depth=2
	v_pk_mov_b32 v[34:35], 0, 0
.LBB5_644:                              ;   in Loop: Header=BB5_591 Depth=2
	s_cbranch_execnz .LBB5_646
.LBB5_645:                              ;   in Loop: Header=BB5_591 Depth=2
	global_load_dwordx2 v[34:35], v3, s[4:5]
.LBB5_646:                              ;   in Loop: Header=BB5_591 Depth=2
	v_readfirstlane_b32 s4, v51
	v_cmp_eq_u32_e64 s[4:5], s4, v51
	v_pk_mov_b32 v[6:7], 0, 0
	s_and_saveexec_b64 s[52:53], s[4:5]
	s_cbranch_execz .LBB5_652
; %bb.647:                              ;   in Loop: Header=BB5_591 Depth=2
	global_load_dwordx2 v[38:39], v3, s[34:35] offset:24 glc
	s_waitcnt vmcnt(0)
	buffer_invl2
	buffer_wbinvl1_vol
	global_load_dwordx2 v[6:7], v3, s[34:35] offset:40
	global_load_dwordx2 v[36:37], v3, s[34:35]
	s_waitcnt vmcnt(1)
	v_and_b32_e32 v1, v6, v38
	v_and_b32_e32 v2, v7, v39
	v_mul_lo_u32 v2, v2, 24
	v_mul_hi_u32 v5, v1, 24
	v_mul_lo_u32 v1, v1, 24
	v_add_u32_e32 v2, v5, v2
	s_waitcnt vmcnt(0)
	v_add_co_u32_e32 v6, vcc, v36, v1
	v_addc_co_u32_e32 v7, vcc, v37, v2, vcc
	global_load_dwordx2 v[36:37], v[6:7], off glc
	s_waitcnt vmcnt(0)
	global_atomic_cmpswap_x2 v[6:7], v3, v[36:39], s[34:35] offset:24 glc
	s_waitcnt vmcnt(0)
	buffer_invl2
	buffer_wbinvl1_vol
	v_cmp_ne_u64_e32 vcc, v[6:7], v[38:39]
	s_and_saveexec_b64 s[54:55], vcc
	s_cbranch_execz .LBB5_651
; %bb.648:                              ;   in Loop: Header=BB5_591 Depth=2
	s_mov_b64 s[56:57], 0
.LBB5_649:                              ;   Parent Loop BB5_278 Depth=1
                                        ;     Parent Loop BB5_591 Depth=2
                                        ; =>    This Inner Loop Header: Depth=3
	s_sleep 1
	global_load_dwordx2 v[36:37], v3, s[34:35] offset:40
	global_load_dwordx2 v[40:41], v3, s[34:35]
	v_pk_mov_b32 v[38:39], v[6:7], v[6:7] op_sel:[0,1]
	s_waitcnt vmcnt(1)
	v_and_b32_e32 v2, v36, v38
	s_waitcnt vmcnt(0)
	v_mad_u64_u32 v[6:7], s[58:59], v2, 24, v[40:41]
	v_and_b32_e32 v1, v37, v39
	v_mov_b32_e32 v2, v7
	v_mad_u64_u32 v[36:37], s[58:59], v1, 24, v[2:3]
	v_mov_b32_e32 v7, v36
	global_load_dwordx2 v[36:37], v[6:7], off glc
	s_waitcnt vmcnt(0)
	global_atomic_cmpswap_x2 v[6:7], v3, v[36:39], s[34:35] offset:24 glc
	s_waitcnt vmcnt(0)
	buffer_invl2
	buffer_wbinvl1_vol
	v_cmp_eq_u64_e32 vcc, v[6:7], v[38:39]
	s_or_b64 s[56:57], vcc, s[56:57]
	s_andn2_b64 exec, exec, s[56:57]
	s_cbranch_execnz .LBB5_649
; %bb.650:                              ;   in Loop: Header=BB5_591 Depth=2
	s_or_b64 exec, exec, s[56:57]
.LBB5_651:                              ;   in Loop: Header=BB5_591 Depth=2
	s_or_b64 exec, exec, s[54:55]
.LBB5_652:                              ;   in Loop: Header=BB5_591 Depth=2
	s_or_b64 exec, exec, s[52:53]
	global_load_dwordx2 v[40:41], v3, s[34:35] offset:40
	global_load_dwordx4 v[36:39], v3, s[34:35]
	v_readfirstlane_b32 s52, v6
	v_readfirstlane_b32 s53, v7
	s_mov_b64 s[54:55], exec
	s_waitcnt vmcnt(1)
	v_readfirstlane_b32 s56, v40
	v_readfirstlane_b32 s57, v41
	s_and_b64 s[56:57], s[52:53], s[56:57]
	s_mul_i32 s58, s57, 24
	s_mul_hi_u32 s59, s56, 24
	s_mul_i32 s62, s56, 24
	s_add_i32 s58, s59, s58
	v_mov_b32_e32 v1, s58
	s_waitcnt vmcnt(0)
	v_add_co_u32_e32 v40, vcc, s62, v36
	v_addc_co_u32_e32 v41, vcc, v37, v1, vcc
	s_and_saveexec_b64 s[58:59], s[4:5]
	s_cbranch_execz .LBB5_654
; %bb.653:                              ;   in Loop: Header=BB5_591 Depth=2
	v_pk_mov_b32 v[6:7], s[54:55], s[54:55] op_sel:[0,1]
	global_store_dwordx4 v[40:41], v[6:9], off offset:8
.LBB5_654:                              ;   in Loop: Header=BB5_591 Depth=2
	s_or_b64 exec, exec, s[58:59]
	s_lshl_b64 s[54:55], s[56:57], 12
	v_mov_b32_e32 v1, s55
	v_add_co_u32_e32 v6, vcc, s54, v38
	v_addc_co_u32_e32 v1, vcc, v39, v1, vcc
	v_or_b32_e32 v2, 0, v21
	v_or_b32_e32 v5, v20, v0
	v_cmp_gt_u64_e64 vcc, s[28:29], 56
	s_lshl_b32 s54, s30, 2
	v_cndmask_b32_e32 v21, v2, v21, vcc
	v_cndmask_b32_e32 v2, v5, v20, vcc
	s_add_i32 s54, s54, 28
	s_and_b32 s54, s54, 0x1e0
	v_and_b32_e32 v2, 0xffffff1f, v2
	v_or_b32_e32 v20, s54, v2
	v_readfirstlane_b32 s54, v6
	v_readfirstlane_b32 s55, v1
	s_nop 4
	global_store_dwordx4 v50, v[20:23], s[54:55]
	global_store_dwordx4 v50, v[24:27], s[54:55] offset:16
	global_store_dwordx4 v50, v[28:31], s[54:55] offset:32
	;; [unrolled: 1-line block ×3, first 2 shown]
	s_and_saveexec_b64 s[54:55], s[4:5]
	s_cbranch_execz .LBB5_662
; %bb.655:                              ;   in Loop: Header=BB5_591 Depth=2
	global_load_dwordx2 v[28:29], v3, s[34:35] offset:32 glc
	global_load_dwordx2 v[20:21], v3, s[34:35] offset:40
	v_mov_b32_e32 v26, s52
	v_mov_b32_e32 v27, s53
	s_waitcnt vmcnt(0)
	v_readfirstlane_b32 s56, v20
	v_readfirstlane_b32 s57, v21
	s_and_b64 s[56:57], s[56:57], s[52:53]
	s_mul_i32 s57, s57, 24
	s_mul_hi_u32 s58, s56, 24
	s_mul_i32 s56, s56, 24
	s_add_i32 s57, s58, s57
	v_mov_b32_e32 v2, s57
	v_add_co_u32_e32 v24, vcc, s56, v36
	v_addc_co_u32_e32 v25, vcc, v37, v2, vcc
	global_store_dwordx2 v[24:25], v[28:29], off
	buffer_wbl2
	s_waitcnt vmcnt(0)
	global_atomic_cmpswap_x2 v[22:23], v3, v[26:29], s[34:35] offset:32 glc
	s_waitcnt vmcnt(0)
	v_cmp_ne_u64_e32 vcc, v[22:23], v[28:29]
	s_and_saveexec_b64 s[56:57], vcc
	s_cbranch_execz .LBB5_658
; %bb.656:                              ;   in Loop: Header=BB5_591 Depth=2
	s_mov_b64 s[58:59], 0
.LBB5_657:                              ;   Parent Loop BB5_278 Depth=1
                                        ;     Parent Loop BB5_591 Depth=2
                                        ; =>    This Inner Loop Header: Depth=3
	s_sleep 1
	global_store_dwordx2 v[24:25], v[22:23], off
	v_mov_b32_e32 v20, s52
	v_mov_b32_e32 v21, s53
	buffer_wbl2
	s_waitcnt vmcnt(0)
	global_atomic_cmpswap_x2 v[20:21], v3, v[20:23], s[34:35] offset:32 glc
	s_waitcnt vmcnt(0)
	v_cmp_eq_u64_e32 vcc, v[20:21], v[22:23]
	s_or_b64 s[58:59], vcc, s[58:59]
	v_pk_mov_b32 v[22:23], v[20:21], v[20:21] op_sel:[0,1]
	s_andn2_b64 exec, exec, s[58:59]
	s_cbranch_execnz .LBB5_657
.LBB5_658:                              ;   in Loop: Header=BB5_591 Depth=2
	s_or_b64 exec, exec, s[56:57]
	global_load_dwordx2 v[20:21], v3, s[34:35] offset:16
	s_mov_b64 s[58:59], exec
	v_mbcnt_lo_u32_b32 v2, s58, 0
	v_mbcnt_hi_u32_b32 v2, s59, v2
	v_cmp_eq_u32_e32 vcc, 0, v2
	s_and_saveexec_b64 s[56:57], vcc
	s_cbranch_execz .LBB5_660
; %bb.659:                              ;   in Loop: Header=BB5_591 Depth=2
	s_bcnt1_i32_b64 s58, s[58:59]
	v_mov_b32_e32 v2, s58
	buffer_wbl2
	s_waitcnt vmcnt(0)
	global_atomic_add_x2 v[20:21], v[2:3], off offset:8
.LBB5_660:                              ;   in Loop: Header=BB5_591 Depth=2
	s_or_b64 exec, exec, s[56:57]
	s_waitcnt vmcnt(0)
	global_load_dwordx2 v[22:23], v[20:21], off offset:16
	s_waitcnt vmcnt(0)
	v_cmp_eq_u64_e32 vcc, 0, v[22:23]
	s_cbranch_vccnz .LBB5_662
; %bb.661:                              ;   in Loop: Header=BB5_591 Depth=2
	global_load_dword v2, v[20:21], off offset:24
	buffer_wbl2
	s_waitcnt vmcnt(0)
	global_store_dwordx2 v[22:23], v[2:3], off
	v_and_b32_e32 v2, 0xffffff, v2
	v_readfirstlane_b32 m0, v2
	s_sendmsg sendmsg(MSG_INTERRUPT)
.LBB5_662:                              ;   in Loop: Header=BB5_591 Depth=2
	s_or_b64 exec, exec, s[54:55]
	v_add_co_u32_e32 v6, vcc, v6, v50
	v_addc_co_u32_e32 v7, vcc, 0, v1, vcc
	s_branch .LBB5_666
.LBB5_663:                              ;   in Loop: Header=BB5_666 Depth=3
	s_or_b64 exec, exec, s[54:55]
	v_readfirstlane_b32 s54, v1
	s_cmp_eq_u32 s54, 0
	s_cbranch_scc1 .LBB5_665
; %bb.664:                              ;   in Loop: Header=BB5_666 Depth=3
	s_sleep 1
	s_cbranch_execnz .LBB5_666
	s_branch .LBB5_668
.LBB5_665:                              ;   in Loop: Header=BB5_591 Depth=2
	s_branch .LBB5_668
.LBB5_666:                              ;   Parent Loop BB5_278 Depth=1
                                        ;     Parent Loop BB5_591 Depth=2
                                        ; =>    This Inner Loop Header: Depth=3
	v_mov_b32_e32 v1, 1
	s_and_saveexec_b64 s[54:55], s[4:5]
	s_cbranch_execz .LBB5_663
; %bb.667:                              ;   in Loop: Header=BB5_666 Depth=3
	global_load_dword v1, v[40:41], off offset:20 glc
	s_waitcnt vmcnt(0)
	buffer_invl2
	buffer_wbinvl1_vol
	v_and_b32_e32 v1, 1, v1
	s_branch .LBB5_663
.LBB5_668:                              ;   in Loop: Header=BB5_591 Depth=2
	global_load_dwordx4 v[20:23], v[6:7], off
	s_and_saveexec_b64 s[54:55], s[4:5]
	s_cbranch_execz .LBB5_590
; %bb.669:                              ;   in Loop: Header=BB5_591 Depth=2
	global_load_dwordx2 v[6:7], v3, s[34:35] offset:40
	global_load_dwordx2 v[26:27], v3, s[34:35] offset:24 glc
	global_load_dwordx2 v[28:29], v3, s[34:35]
	v_mov_b32_e32 v1, s53
	s_waitcnt vmcnt(2)
	v_add_co_u32_e32 v2, vcc, 1, v6
	v_addc_co_u32_e32 v5, vcc, 0, v7, vcc
	v_add_co_u32_e32 v22, vcc, s52, v2
	v_addc_co_u32_e32 v23, vcc, v5, v1, vcc
	v_cmp_eq_u64_e32 vcc, 0, v[22:23]
	v_cndmask_b32_e32 v23, v23, v5, vcc
	v_cndmask_b32_e32 v22, v22, v2, vcc
	v_and_b32_e32 v1, v23, v7
	v_and_b32_e32 v2, v22, v6
	v_mul_lo_u32 v1, v1, 24
	v_mul_hi_u32 v5, v2, 24
	v_mul_lo_u32 v2, v2, 24
	v_add_u32_e32 v1, v5, v1
	s_waitcnt vmcnt(0)
	v_add_co_u32_e32 v6, vcc, v28, v2
	v_addc_co_u32_e32 v7, vcc, v29, v1, vcc
	v_mov_b32_e32 v24, v26
	global_store_dwordx2 v[6:7], v[26:27], off
	v_mov_b32_e32 v25, v27
	buffer_wbl2
	s_waitcnt vmcnt(0)
	global_atomic_cmpswap_x2 v[24:25], v3, v[22:25], s[34:35] offset:24 glc
	s_waitcnt vmcnt(0)
	v_cmp_ne_u64_e32 vcc, v[24:25], v[26:27]
	s_and_b64 exec, exec, vcc
	s_cbranch_execz .LBB5_590
; %bb.670:                              ;   in Loop: Header=BB5_591 Depth=2
	s_mov_b64 s[4:5], 0
.LBB5_671:                              ;   Parent Loop BB5_278 Depth=1
                                        ;     Parent Loop BB5_591 Depth=2
                                        ; =>    This Inner Loop Header: Depth=3
	s_sleep 1
	global_store_dwordx2 v[6:7], v[24:25], off
	buffer_wbl2
	s_waitcnt vmcnt(0)
	global_atomic_cmpswap_x2 v[26:27], v3, v[22:25], s[34:35] offset:24 glc
	s_waitcnt vmcnt(0)
	v_cmp_eq_u64_e32 vcc, v[26:27], v[24:25]
	s_or_b64 s[4:5], vcc, s[4:5]
	v_pk_mov_b32 v[24:25], v[26:27], v[26:27] op_sel:[0,1]
	s_andn2_b64 exec, exec, s[4:5]
	s_cbranch_execnz .LBB5_671
	s_branch .LBB5_590
.LBB5_672:                              ;   in Loop: Header=BB5_278 Depth=1
	s_branch .LBB5_701
.LBB5_673:                              ;   in Loop: Header=BB5_278 Depth=1
                                        ; implicit-def: $vgpr20_vgpr21
	s_cbranch_execz .LBB5_701
; %bb.674:                              ;   in Loop: Header=BB5_278 Depth=1
	v_readfirstlane_b32 s4, v51
	v_cmp_eq_u32_e64 s[4:5], s4, v51
	s_waitcnt vmcnt(0)
	v_pk_mov_b32 v[0:1], 0, 0
	s_and_saveexec_b64 s[24:25], s[4:5]
	s_cbranch_execz .LBB5_680
; %bb.675:                              ;   in Loop: Header=BB5_278 Depth=1
	global_load_dwordx2 v[22:23], v3, s[34:35] offset:24 glc
	s_waitcnt vmcnt(0)
	buffer_invl2
	buffer_wbinvl1_vol
	global_load_dwordx2 v[0:1], v3, s[34:35] offset:40
	global_load_dwordx2 v[6:7], v3, s[34:35]
	s_waitcnt vmcnt(1)
	v_and_b32_e32 v0, v0, v22
	v_and_b32_e32 v1, v1, v23
	v_mul_lo_u32 v1, v1, 24
	v_mul_hi_u32 v2, v0, 24
	v_mul_lo_u32 v0, v0, 24
	v_add_u32_e32 v1, v2, v1
	s_waitcnt vmcnt(0)
	v_add_co_u32_e32 v0, vcc, v6, v0
	v_addc_co_u32_e32 v1, vcc, v7, v1, vcc
	global_load_dwordx2 v[20:21], v[0:1], off glc
	s_waitcnt vmcnt(0)
	global_atomic_cmpswap_x2 v[0:1], v3, v[20:23], s[34:35] offset:24 glc
	s_waitcnt vmcnt(0)
	buffer_invl2
	buffer_wbinvl1_vol
	v_cmp_ne_u64_e32 vcc, v[0:1], v[22:23]
	s_and_saveexec_b64 s[28:29], vcc
	s_cbranch_execz .LBB5_679
; %bb.676:                              ;   in Loop: Header=BB5_278 Depth=1
	s_mov_b64 s[30:31], 0
.LBB5_677:                              ;   Parent Loop BB5_278 Depth=1
                                        ; =>  This Inner Loop Header: Depth=2
	s_sleep 1
	global_load_dwordx2 v[6:7], v3, s[34:35] offset:40
	global_load_dwordx2 v[20:21], v3, s[34:35]
	v_pk_mov_b32 v[22:23], v[0:1], v[0:1] op_sel:[0,1]
	s_waitcnt vmcnt(1)
	v_and_b32_e32 v0, v6, v22
	s_waitcnt vmcnt(0)
	v_mad_u64_u32 v[0:1], s[52:53], v0, 24, v[20:21]
	v_and_b32_e32 v5, v7, v23
	v_mov_b32_e32 v2, v1
	v_mad_u64_u32 v[6:7], s[52:53], v5, 24, v[2:3]
	v_mov_b32_e32 v1, v6
	global_load_dwordx2 v[20:21], v[0:1], off glc
	s_waitcnt vmcnt(0)
	global_atomic_cmpswap_x2 v[0:1], v3, v[20:23], s[34:35] offset:24 glc
	s_waitcnt vmcnt(0)
	buffer_invl2
	buffer_wbinvl1_vol
	v_cmp_eq_u64_e32 vcc, v[0:1], v[22:23]
	s_or_b64 s[30:31], vcc, s[30:31]
	s_andn2_b64 exec, exec, s[30:31]
	s_cbranch_execnz .LBB5_677
; %bb.678:                              ;   in Loop: Header=BB5_278 Depth=1
	s_or_b64 exec, exec, s[30:31]
.LBB5_679:                              ;   in Loop: Header=BB5_278 Depth=1
	s_or_b64 exec, exec, s[28:29]
.LBB5_680:                              ;   in Loop: Header=BB5_278 Depth=1
	s_or_b64 exec, exec, s[24:25]
	global_load_dwordx2 v[6:7], v3, s[34:35] offset:40
	global_load_dwordx4 v[22:25], v3, s[34:35]
	v_readfirstlane_b32 s24, v0
	v_readfirstlane_b32 s25, v1
	s_mov_b64 s[28:29], exec
	s_waitcnt vmcnt(1)
	v_readfirstlane_b32 s30, v6
	v_readfirstlane_b32 s31, v7
	s_and_b64 s[30:31], s[24:25], s[30:31]
	s_mul_i32 s52, s31, 24
	s_mul_hi_u32 s53, s30, 24
	s_mul_i32 s54, s30, 24
	s_add_i32 s52, s53, s52
	v_mov_b32_e32 v1, s52
	s_waitcnt vmcnt(0)
	v_add_co_u32_e32 v0, vcc, s54, v22
	v_addc_co_u32_e32 v1, vcc, v23, v1, vcc
	s_and_saveexec_b64 s[52:53], s[4:5]
	s_cbranch_execz .LBB5_682
; %bb.681:                              ;   in Loop: Header=BB5_278 Depth=1
	v_pk_mov_b32 v[6:7], s[28:29], s[28:29] op_sel:[0,1]
	global_store_dwordx4 v[0:1], v[6:9], off offset:8
.LBB5_682:                              ;   in Loop: Header=BB5_278 Depth=1
	s_or_b64 exec, exec, s[52:53]
	s_lshl_b64 s[28:29], s[30:31], 12
	v_mov_b32_e32 v2, s29
	v_add_co_u32_e32 v6, vcc, s28, v24
	v_addc_co_u32_e32 v5, vcc, v25, v2, vcc
	v_and_or_b32 v18, v18, s33, 32
	v_mov_b32_e32 v20, v3
	v_mov_b32_e32 v21, v3
	v_readfirstlane_b32 s28, v6
	v_readfirstlane_b32 s29, v5
	s_nop 4
	global_store_dwordx4 v50, v[18:21], s[28:29]
	s_nop 0
	v_pk_mov_b32 v[20:21], s[10:11], s[10:11] op_sel:[0,1]
	v_pk_mov_b32 v[18:19], s[8:9], s[8:9] op_sel:[0,1]
	global_store_dwordx4 v50, v[18:21], s[28:29] offset:16
	global_store_dwordx4 v50, v[18:21], s[28:29] offset:32
	;; [unrolled: 1-line block ×3, first 2 shown]
	s_and_saveexec_b64 s[28:29], s[4:5]
	s_cbranch_execz .LBB5_690
; %bb.683:                              ;   in Loop: Header=BB5_278 Depth=1
	global_load_dwordx2 v[26:27], v3, s[34:35] offset:32 glc
	global_load_dwordx2 v[18:19], v3, s[34:35] offset:40
	v_mov_b32_e32 v24, s24
	v_mov_b32_e32 v25, s25
	s_waitcnt vmcnt(0)
	v_readfirstlane_b32 s30, v18
	v_readfirstlane_b32 s31, v19
	s_and_b64 s[30:31], s[30:31], s[24:25]
	s_mul_i32 s31, s31, 24
	s_mul_hi_u32 s52, s30, 24
	s_mul_i32 s30, s30, 24
	s_add_i32 s31, s52, s31
	v_mov_b32_e32 v2, s31
	v_add_co_u32_e32 v22, vcc, s30, v22
	v_addc_co_u32_e32 v23, vcc, v23, v2, vcc
	global_store_dwordx2 v[22:23], v[26:27], off
	buffer_wbl2
	s_waitcnt vmcnt(0)
	global_atomic_cmpswap_x2 v[20:21], v3, v[24:27], s[34:35] offset:32 glc
	s_waitcnt vmcnt(0)
	v_cmp_ne_u64_e32 vcc, v[20:21], v[26:27]
	s_and_saveexec_b64 s[30:31], vcc
	s_cbranch_execz .LBB5_686
; %bb.684:                              ;   in Loop: Header=BB5_278 Depth=1
	s_mov_b64 s[52:53], 0
.LBB5_685:                              ;   Parent Loop BB5_278 Depth=1
                                        ; =>  This Inner Loop Header: Depth=2
	s_sleep 1
	global_store_dwordx2 v[22:23], v[20:21], off
	v_mov_b32_e32 v18, s24
	v_mov_b32_e32 v19, s25
	buffer_wbl2
	s_waitcnt vmcnt(0)
	global_atomic_cmpswap_x2 v[18:19], v3, v[18:21], s[34:35] offset:32 glc
	s_waitcnt vmcnt(0)
	v_cmp_eq_u64_e32 vcc, v[18:19], v[20:21]
	s_or_b64 s[52:53], vcc, s[52:53]
	v_pk_mov_b32 v[20:21], v[18:19], v[18:19] op_sel:[0,1]
	s_andn2_b64 exec, exec, s[52:53]
	s_cbranch_execnz .LBB5_685
.LBB5_686:                              ;   in Loop: Header=BB5_278 Depth=1
	s_or_b64 exec, exec, s[30:31]
	global_load_dwordx2 v[18:19], v3, s[34:35] offset:16
	s_mov_b64 s[52:53], exec
	v_mbcnt_lo_u32_b32 v2, s52, 0
	v_mbcnt_hi_u32_b32 v2, s53, v2
	v_cmp_eq_u32_e32 vcc, 0, v2
	s_and_saveexec_b64 s[30:31], vcc
	s_cbranch_execz .LBB5_688
; %bb.687:                              ;   in Loop: Header=BB5_278 Depth=1
	s_bcnt1_i32_b64 s52, s[52:53]
	v_mov_b32_e32 v2, s52
	buffer_wbl2
	s_waitcnt vmcnt(0)
	global_atomic_add_x2 v[18:19], v[2:3], off offset:8
.LBB5_688:                              ;   in Loop: Header=BB5_278 Depth=1
	s_or_b64 exec, exec, s[30:31]
	s_waitcnt vmcnt(0)
	global_load_dwordx2 v[20:21], v[18:19], off offset:16
	s_waitcnt vmcnt(0)
	v_cmp_eq_u64_e32 vcc, 0, v[20:21]
	s_cbranch_vccnz .LBB5_690
; %bb.689:                              ;   in Loop: Header=BB5_278 Depth=1
	global_load_dword v2, v[18:19], off offset:24
	buffer_wbl2
	s_waitcnt vmcnt(0)
	global_store_dwordx2 v[20:21], v[2:3], off
	v_and_b32_e32 v2, 0xffffff, v2
	v_readfirstlane_b32 m0, v2
	s_sendmsg sendmsg(MSG_INTERRUPT)
.LBB5_690:                              ;   in Loop: Header=BB5_278 Depth=1
	s_or_b64 exec, exec, s[28:29]
	v_add_co_u32_e32 v6, vcc, v6, v50
	v_addc_co_u32_e32 v7, vcc, 0, v5, vcc
	s_branch .LBB5_694
.LBB5_691:                              ;   in Loop: Header=BB5_694 Depth=2
	s_or_b64 exec, exec, s[28:29]
	v_readfirstlane_b32 s28, v2
	s_cmp_eq_u32 s28, 0
	s_cbranch_scc1 .LBB5_693
; %bb.692:                              ;   in Loop: Header=BB5_694 Depth=2
	s_sleep 1
	s_cbranch_execnz .LBB5_694
	s_branch .LBB5_696
.LBB5_693:                              ;   in Loop: Header=BB5_278 Depth=1
	s_branch .LBB5_696
.LBB5_694:                              ;   Parent Loop BB5_278 Depth=1
                                        ; =>  This Inner Loop Header: Depth=2
	v_mov_b32_e32 v2, 1
	s_and_saveexec_b64 s[28:29], s[4:5]
	s_cbranch_execz .LBB5_691
; %bb.695:                              ;   in Loop: Header=BB5_694 Depth=2
	global_load_dword v2, v[0:1], off offset:20 glc
	s_waitcnt vmcnt(0)
	buffer_invl2
	buffer_wbinvl1_vol
	v_and_b32_e32 v2, 1, v2
	s_branch .LBB5_691
.LBB5_696:                              ;   in Loop: Header=BB5_278 Depth=1
	global_load_dwordx2 v[20:21], v[6:7], off
	s_and_saveexec_b64 s[28:29], s[4:5]
	s_cbranch_execz .LBB5_700
; %bb.697:                              ;   in Loop: Header=BB5_278 Depth=1
	global_load_dwordx2 v[0:1], v3, s[34:35] offset:40
	global_load_dwordx2 v[6:7], v3, s[34:35] offset:24 glc
	global_load_dwordx2 v[18:19], v3, s[34:35]
	v_mov_b32_e32 v2, s25
	s_waitcnt vmcnt(2)
	v_add_co_u32_e32 v5, vcc, 1, v0
	v_addc_co_u32_e32 v25, vcc, 0, v1, vcc
	v_add_co_u32_e32 v22, vcc, s24, v5
	v_addc_co_u32_e32 v23, vcc, v25, v2, vcc
	v_cmp_eq_u64_e32 vcc, 0, v[22:23]
	v_cndmask_b32_e32 v23, v23, v25, vcc
	v_cndmask_b32_e32 v22, v22, v5, vcc
	v_and_b32_e32 v1, v23, v1
	v_and_b32_e32 v0, v22, v0
	v_mul_lo_u32 v1, v1, 24
	v_mul_hi_u32 v2, v0, 24
	v_mul_lo_u32 v0, v0, 24
	v_add_u32_e32 v1, v2, v1
	s_waitcnt vmcnt(0)
	v_add_co_u32_e32 v0, vcc, v18, v0
	v_addc_co_u32_e32 v1, vcc, v19, v1, vcc
	v_mov_b32_e32 v24, v6
	global_store_dwordx2 v[0:1], v[6:7], off
	v_mov_b32_e32 v25, v7
	buffer_wbl2
	s_waitcnt vmcnt(0)
	global_atomic_cmpswap_x2 v[24:25], v3, v[22:25], s[34:35] offset:24 glc
	s_waitcnt vmcnt(0)
	v_cmp_ne_u64_e32 vcc, v[24:25], v[6:7]
	s_and_b64 exec, exec, vcc
	s_cbranch_execz .LBB5_700
; %bb.698:                              ;   in Loop: Header=BB5_278 Depth=1
	s_mov_b64 s[4:5], 0
.LBB5_699:                              ;   Parent Loop BB5_278 Depth=1
                                        ; =>  This Inner Loop Header: Depth=2
	s_sleep 1
	global_store_dwordx2 v[0:1], v[24:25], off
	buffer_wbl2
	s_waitcnt vmcnt(0)
	global_atomic_cmpswap_x2 v[6:7], v3, v[22:25], s[34:35] offset:24 glc
	s_waitcnt vmcnt(0)
	v_cmp_eq_u64_e32 vcc, v[6:7], v[24:25]
	s_or_b64 s[4:5], vcc, s[4:5]
	v_pk_mov_b32 v[24:25], v[6:7], v[6:7] op_sel:[0,1]
	s_andn2_b64 exec, exec, s[4:5]
	s_cbranch_execnz .LBB5_699
.LBB5_700:                              ;   in Loop: Header=BB5_278 Depth=1
	s_or_b64 exec, exec, s[28:29]
.LBB5_701:                              ;   in Loop: Header=BB5_278 Depth=1
	v_readfirstlane_b32 s4, v51
	v_cmp_eq_u32_e64 s[4:5], s4, v51
	s_waitcnt vmcnt(0)
	v_pk_mov_b32 v[0:1], 0, 0
	s_and_saveexec_b64 s[24:25], s[4:5]
	s_cbranch_execz .LBB5_707
; %bb.702:                              ;   in Loop: Header=BB5_278 Depth=1
	global_load_dwordx2 v[24:25], v3, s[34:35] offset:24 glc
	s_waitcnt vmcnt(0)
	buffer_invl2
	buffer_wbinvl1_vol
	global_load_dwordx2 v[0:1], v3, s[34:35] offset:40
	global_load_dwordx2 v[6:7], v3, s[34:35]
	s_waitcnt vmcnt(1)
	v_and_b32_e32 v0, v0, v24
	v_and_b32_e32 v1, v1, v25
	v_mul_lo_u32 v1, v1, 24
	v_mul_hi_u32 v2, v0, 24
	v_mul_lo_u32 v0, v0, 24
	v_add_u32_e32 v1, v2, v1
	s_waitcnt vmcnt(0)
	v_add_co_u32_e32 v0, vcc, v6, v0
	v_addc_co_u32_e32 v1, vcc, v7, v1, vcc
	global_load_dwordx2 v[22:23], v[0:1], off glc
	s_waitcnt vmcnt(0)
	global_atomic_cmpswap_x2 v[0:1], v3, v[22:25], s[34:35] offset:24 glc
	s_waitcnt vmcnt(0)
	buffer_invl2
	buffer_wbinvl1_vol
	v_cmp_ne_u64_e32 vcc, v[0:1], v[24:25]
	s_and_saveexec_b64 s[28:29], vcc
	s_cbranch_execz .LBB5_706
; %bb.703:                              ;   in Loop: Header=BB5_278 Depth=1
	s_mov_b64 s[30:31], 0
.LBB5_704:                              ;   Parent Loop BB5_278 Depth=1
                                        ; =>  This Inner Loop Header: Depth=2
	s_sleep 1
	global_load_dwordx2 v[6:7], v3, s[34:35] offset:40
	global_load_dwordx2 v[18:19], v3, s[34:35]
	v_pk_mov_b32 v[24:25], v[0:1], v[0:1] op_sel:[0,1]
	s_waitcnt vmcnt(1)
	v_and_b32_e32 v0, v6, v24
	s_waitcnt vmcnt(0)
	v_mad_u64_u32 v[0:1], s[52:53], v0, 24, v[18:19]
	v_and_b32_e32 v5, v7, v25
	v_mov_b32_e32 v2, v1
	v_mad_u64_u32 v[6:7], s[52:53], v5, 24, v[2:3]
	v_mov_b32_e32 v1, v6
	global_load_dwordx2 v[22:23], v[0:1], off glc
	s_waitcnt vmcnt(0)
	global_atomic_cmpswap_x2 v[0:1], v3, v[22:25], s[34:35] offset:24 glc
	s_waitcnt vmcnt(0)
	buffer_invl2
	buffer_wbinvl1_vol
	v_cmp_eq_u64_e32 vcc, v[0:1], v[24:25]
	s_or_b64 s[30:31], vcc, s[30:31]
	s_andn2_b64 exec, exec, s[30:31]
	s_cbranch_execnz .LBB5_704
; %bb.705:                              ;   in Loop: Header=BB5_278 Depth=1
	s_or_b64 exec, exec, s[30:31]
.LBB5_706:                              ;   in Loop: Header=BB5_278 Depth=1
	s_or_b64 exec, exec, s[28:29]
.LBB5_707:                              ;   in Loop: Header=BB5_278 Depth=1
	s_or_b64 exec, exec, s[24:25]
	global_load_dwordx2 v[6:7], v3, s[34:35] offset:40
	global_load_dwordx4 v[24:27], v3, s[34:35]
	v_readfirstlane_b32 s24, v0
	v_readfirstlane_b32 s25, v1
	s_mov_b64 s[28:29], exec
	s_waitcnt vmcnt(1)
	v_readfirstlane_b32 s30, v6
	v_readfirstlane_b32 s31, v7
	s_and_b64 s[30:31], s[24:25], s[30:31]
	s_mul_i32 s52, s31, 24
	s_mul_hi_u32 s53, s30, 24
	s_mul_i32 s54, s30, 24
	s_add_i32 s52, s53, s52
	v_mov_b32_e32 v1, s52
	s_waitcnt vmcnt(0)
	v_add_co_u32_e32 v0, vcc, s54, v24
	v_addc_co_u32_e32 v1, vcc, v25, v1, vcc
	s_and_saveexec_b64 s[52:53], s[4:5]
	s_cbranch_execz .LBB5_709
; %bb.708:                              ;   in Loop: Header=BB5_278 Depth=1
	v_pk_mov_b32 v[6:7], s[28:29], s[28:29] op_sel:[0,1]
	global_store_dwordx4 v[0:1], v[6:9], off offset:8
.LBB5_709:                              ;   in Loop: Header=BB5_278 Depth=1
	s_or_b64 exec, exec, s[52:53]
	s_lshl_b64 s[28:29], s[30:31], 12
	v_mov_b32_e32 v5, s29
	v_add_co_u32_e32 v2, vcc, s28, v26
	v_addc_co_u32_e32 v5, vcc, v27, v5, vcc
	s_ashr_i32 s28, s61, 1
	v_and_or_b32 v20, v20, s60, 34
	v_mov_b32_e32 v22, s28
	v_mov_b32_e32 v23, v3
	v_readfirstlane_b32 s28, v2
	v_readfirstlane_b32 s29, v5
	s_nop 4
	global_store_dwordx4 v50, v[20:23], s[28:29]
	s_nop 0
	v_pk_mov_b32 v[20:21], s[10:11], s[10:11] op_sel:[0,1]
	v_pk_mov_b32 v[18:19], s[8:9], s[8:9] op_sel:[0,1]
	global_store_dwordx4 v50, v[18:21], s[28:29] offset:16
	global_store_dwordx4 v50, v[18:21], s[28:29] offset:32
	;; [unrolled: 1-line block ×3, first 2 shown]
	s_and_saveexec_b64 s[28:29], s[4:5]
	s_cbranch_execz .LBB5_717
; %bb.710:                              ;   in Loop: Header=BB5_278 Depth=1
	global_load_dwordx2 v[22:23], v3, s[34:35] offset:32 glc
	global_load_dwordx2 v[6:7], v3, s[34:35] offset:40
	v_mov_b32_e32 v20, s24
	v_mov_b32_e32 v21, s25
	s_waitcnt vmcnt(0)
	v_readfirstlane_b32 s30, v6
	v_readfirstlane_b32 s31, v7
	s_and_b64 s[30:31], s[30:31], s[24:25]
	s_mul_i32 s31, s31, 24
	s_mul_hi_u32 s52, s30, 24
	s_mul_i32 s30, s30, 24
	s_add_i32 s31, s52, s31
	v_mov_b32_e32 v2, s31
	v_add_co_u32_e32 v6, vcc, s30, v24
	v_addc_co_u32_e32 v7, vcc, v25, v2, vcc
	global_store_dwordx2 v[6:7], v[22:23], off
	buffer_wbl2
	s_waitcnt vmcnt(0)
	global_atomic_cmpswap_x2 v[20:21], v3, v[20:23], s[34:35] offset:32 glc
	s_waitcnt vmcnt(0)
	v_cmp_ne_u64_e32 vcc, v[20:21], v[22:23]
	s_and_saveexec_b64 s[30:31], vcc
	s_cbranch_execz .LBB5_713
; %bb.711:                              ;   in Loop: Header=BB5_278 Depth=1
	s_mov_b64 s[52:53], 0
.LBB5_712:                              ;   Parent Loop BB5_278 Depth=1
                                        ; =>  This Inner Loop Header: Depth=2
	s_sleep 1
	global_store_dwordx2 v[6:7], v[20:21], off
	v_mov_b32_e32 v18, s24
	v_mov_b32_e32 v19, s25
	buffer_wbl2
	s_waitcnt vmcnt(0)
	global_atomic_cmpswap_x2 v[18:19], v3, v[18:21], s[34:35] offset:32 glc
	s_waitcnt vmcnt(0)
	v_cmp_eq_u64_e32 vcc, v[18:19], v[20:21]
	s_or_b64 s[52:53], vcc, s[52:53]
	v_pk_mov_b32 v[20:21], v[18:19], v[18:19] op_sel:[0,1]
	s_andn2_b64 exec, exec, s[52:53]
	s_cbranch_execnz .LBB5_712
.LBB5_713:                              ;   in Loop: Header=BB5_278 Depth=1
	s_or_b64 exec, exec, s[30:31]
	global_load_dwordx2 v[6:7], v3, s[34:35] offset:16
	s_mov_b64 s[52:53], exec
	v_mbcnt_lo_u32_b32 v2, s52, 0
	v_mbcnt_hi_u32_b32 v2, s53, v2
	v_cmp_eq_u32_e32 vcc, 0, v2
	s_and_saveexec_b64 s[30:31], vcc
	s_cbranch_execz .LBB5_715
; %bb.714:                              ;   in Loop: Header=BB5_278 Depth=1
	s_bcnt1_i32_b64 s52, s[52:53]
	v_mov_b32_e32 v2, s52
	buffer_wbl2
	s_waitcnt vmcnt(0)
	global_atomic_add_x2 v[6:7], v[2:3], off offset:8
.LBB5_715:                              ;   in Loop: Header=BB5_278 Depth=1
	s_or_b64 exec, exec, s[30:31]
	s_waitcnt vmcnt(0)
	global_load_dwordx2 v[18:19], v[6:7], off offset:16
	s_waitcnt vmcnt(0)
	v_cmp_eq_u64_e32 vcc, 0, v[18:19]
	s_cbranch_vccnz .LBB5_717
; %bb.716:                              ;   in Loop: Header=BB5_278 Depth=1
	global_load_dword v2, v[6:7], off offset:24
	buffer_wbl2
	s_waitcnt vmcnt(0)
	global_store_dwordx2 v[18:19], v[2:3], off
	v_and_b32_e32 v2, 0xffffff, v2
	v_readfirstlane_b32 m0, v2
	s_sendmsg sendmsg(MSG_INTERRUPT)
.LBB5_717:                              ;   in Loop: Header=BB5_278 Depth=1
	s_or_b64 exec, exec, s[28:29]
	s_branch .LBB5_721
.LBB5_718:                              ;   in Loop: Header=BB5_721 Depth=2
	s_or_b64 exec, exec, s[28:29]
	v_readfirstlane_b32 s28, v2
	s_cmp_eq_u32 s28, 0
	s_cbranch_scc1 .LBB5_720
; %bb.719:                              ;   in Loop: Header=BB5_721 Depth=2
	s_sleep 1
	s_cbranch_execnz .LBB5_721
	s_branch .LBB5_723
.LBB5_720:                              ;   in Loop: Header=BB5_278 Depth=1
	s_branch .LBB5_723
.LBB5_721:                              ;   Parent Loop BB5_278 Depth=1
                                        ; =>  This Inner Loop Header: Depth=2
	v_mov_b32_e32 v2, 1
	s_and_saveexec_b64 s[28:29], s[4:5]
	s_cbranch_execz .LBB5_718
; %bb.722:                              ;   in Loop: Header=BB5_721 Depth=2
	global_load_dword v2, v[0:1], off offset:20 glc
	s_waitcnt vmcnt(0)
	buffer_invl2
	buffer_wbinvl1_vol
	v_and_b32_e32 v2, 1, v2
	s_branch .LBB5_718
.LBB5_723:                              ;   in Loop: Header=BB5_278 Depth=1
	s_and_saveexec_b64 s[28:29], s[4:5]
	s_cbranch_execz .LBB5_727
; %bb.724:                              ;   in Loop: Header=BB5_278 Depth=1
	global_load_dwordx2 v[0:1], v3, s[34:35] offset:40
	global_load_dwordx2 v[6:7], v3, s[34:35] offset:24 glc
	global_load_dwordx2 v[22:23], v3, s[34:35]
	v_mov_b32_e32 v2, s25
	s_waitcnt vmcnt(2)
	v_add_co_u32_e32 v5, vcc, 1, v0
	v_addc_co_u32_e32 v21, vcc, 0, v1, vcc
	v_add_co_u32_e32 v18, vcc, s24, v5
	v_addc_co_u32_e32 v19, vcc, v21, v2, vcc
	v_cmp_eq_u64_e32 vcc, 0, v[18:19]
	v_cndmask_b32_e32 v19, v19, v21, vcc
	v_cndmask_b32_e32 v18, v18, v5, vcc
	v_and_b32_e32 v1, v19, v1
	v_and_b32_e32 v0, v18, v0
	v_mul_lo_u32 v1, v1, 24
	v_mul_hi_u32 v2, v0, 24
	v_mul_lo_u32 v0, v0, 24
	v_add_u32_e32 v1, v2, v1
	s_waitcnt vmcnt(0)
	v_add_co_u32_e32 v0, vcc, v22, v0
	v_addc_co_u32_e32 v1, vcc, v23, v1, vcc
	v_mov_b32_e32 v20, v6
	global_store_dwordx2 v[0:1], v[6:7], off
	v_mov_b32_e32 v21, v7
	buffer_wbl2
	s_waitcnt vmcnt(0)
	global_atomic_cmpswap_x2 v[20:21], v3, v[18:21], s[34:35] offset:24 glc
	s_waitcnt vmcnt(0)
	v_cmp_ne_u64_e32 vcc, v[20:21], v[6:7]
	s_and_b64 exec, exec, vcc
	s_cbranch_execz .LBB5_727
; %bb.725:                              ;   in Loop: Header=BB5_278 Depth=1
	s_mov_b64 s[4:5], 0
.LBB5_726:                              ;   Parent Loop BB5_278 Depth=1
                                        ; =>  This Inner Loop Header: Depth=2
	s_sleep 1
	global_store_dwordx2 v[0:1], v[20:21], off
	buffer_wbl2
	s_waitcnt vmcnt(0)
	global_atomic_cmpswap_x2 v[6:7], v3, v[18:21], s[34:35] offset:24 glc
	s_waitcnt vmcnt(0)
	v_cmp_eq_u64_e32 vcc, v[6:7], v[20:21]
	s_or_b64 s[4:5], vcc, s[4:5]
	v_pk_mov_b32 v[20:21], v[6:7], v[6:7] op_sel:[0,1]
	s_andn2_b64 exec, exec, s[4:5]
	s_cbranch_execnz .LBB5_726
.LBB5_727:                              ;   in Loop: Header=BB5_278 Depth=1
	s_or_b64 exec, exec, s[28:29]
	s_branch .LBB5_867
.LBB5_728:                              ;   in Loop: Header=BB5_278 Depth=1
	v_readfirstlane_b32 s4, v51
	v_cmp_eq_u32_e64 s[4:5], s4, v51
	v_pk_mov_b32 v[0:1], 0, 0
	s_and_saveexec_b64 s[24:25], s[4:5]
	s_cbranch_execz .LBB5_734
; %bb.729:                              ;   in Loop: Header=BB5_278 Depth=1
	global_load_dwordx2 v[20:21], v3, s[34:35] offset:24 glc
	s_waitcnt vmcnt(0)
	buffer_invl2
	buffer_wbinvl1_vol
	global_load_dwordx2 v[0:1], v3, s[34:35] offset:40
	global_load_dwordx2 v[6:7], v3, s[34:35]
	s_waitcnt vmcnt(1)
	v_and_b32_e32 v0, v0, v20
	v_and_b32_e32 v1, v1, v21
	v_mul_lo_u32 v1, v1, 24
	v_mul_hi_u32 v2, v0, 24
	v_mul_lo_u32 v0, v0, 24
	v_add_u32_e32 v1, v2, v1
	s_waitcnt vmcnt(0)
	v_add_co_u32_e32 v0, vcc, v6, v0
	v_addc_co_u32_e32 v1, vcc, v7, v1, vcc
	global_load_dwordx2 v[18:19], v[0:1], off glc
	s_waitcnt vmcnt(0)
	global_atomic_cmpswap_x2 v[0:1], v3, v[18:21], s[34:35] offset:24 glc
	s_waitcnt vmcnt(0)
	buffer_invl2
	buffer_wbinvl1_vol
	v_cmp_ne_u64_e32 vcc, v[0:1], v[20:21]
	s_and_saveexec_b64 s[28:29], vcc
	s_cbranch_execz .LBB5_733
; %bb.730:                              ;   in Loop: Header=BB5_278 Depth=1
	s_mov_b64 s[30:31], 0
.LBB5_731:                              ;   Parent Loop BB5_278 Depth=1
                                        ; =>  This Inner Loop Header: Depth=2
	s_sleep 1
	global_load_dwordx2 v[6:7], v3, s[34:35] offset:40
	global_load_dwordx2 v[18:19], v3, s[34:35]
	v_pk_mov_b32 v[20:21], v[0:1], v[0:1] op_sel:[0,1]
	s_waitcnt vmcnt(1)
	v_and_b32_e32 v0, v6, v20
	s_waitcnt vmcnt(0)
	v_mad_u64_u32 v[0:1], s[52:53], v0, 24, v[18:19]
	v_and_b32_e32 v5, v7, v21
	v_mov_b32_e32 v2, v1
	v_mad_u64_u32 v[6:7], s[52:53], v5, 24, v[2:3]
	v_mov_b32_e32 v1, v6
	global_load_dwordx2 v[18:19], v[0:1], off glc
	s_waitcnt vmcnt(0)
	global_atomic_cmpswap_x2 v[0:1], v3, v[18:21], s[34:35] offset:24 glc
	s_waitcnt vmcnt(0)
	buffer_invl2
	buffer_wbinvl1_vol
	v_cmp_eq_u64_e32 vcc, v[0:1], v[20:21]
	s_or_b64 s[30:31], vcc, s[30:31]
	s_andn2_b64 exec, exec, s[30:31]
	s_cbranch_execnz .LBB5_731
; %bb.732:                              ;   in Loop: Header=BB5_278 Depth=1
	s_or_b64 exec, exec, s[30:31]
.LBB5_733:                              ;   in Loop: Header=BB5_278 Depth=1
	s_or_b64 exec, exec, s[28:29]
.LBB5_734:                              ;   in Loop: Header=BB5_278 Depth=1
	s_or_b64 exec, exec, s[24:25]
	global_load_dwordx2 v[6:7], v3, s[34:35] offset:40
	global_load_dwordx4 v[18:21], v3, s[34:35]
	v_readfirstlane_b32 s24, v0
	v_readfirstlane_b32 s25, v1
	s_mov_b64 s[28:29], exec
	s_waitcnt vmcnt(1)
	v_readfirstlane_b32 s30, v6
	v_readfirstlane_b32 s31, v7
	s_and_b64 s[30:31], s[24:25], s[30:31]
	s_mul_i32 s52, s31, 24
	s_mul_hi_u32 s53, s30, 24
	s_mul_i32 s54, s30, 24
	s_add_i32 s52, s53, s52
	v_mov_b32_e32 v1, s52
	s_waitcnt vmcnt(0)
	v_add_co_u32_e32 v0, vcc, s54, v18
	v_addc_co_u32_e32 v1, vcc, v19, v1, vcc
	s_and_saveexec_b64 s[52:53], s[4:5]
	s_cbranch_execz .LBB5_736
; %bb.735:                              ;   in Loop: Header=BB5_278 Depth=1
	v_pk_mov_b32 v[6:7], s[28:29], s[28:29] op_sel:[0,1]
	global_store_dwordx4 v[0:1], v[6:9], off offset:8
.LBB5_736:                              ;   in Loop: Header=BB5_278 Depth=1
	s_or_b64 exec, exec, s[52:53]
	s_lshl_b64 s[28:29], s[30:31], 12
	v_mov_b32_e32 v2, s29
	v_add_co_u32_e32 v22, vcc, s28, v20
	v_addc_co_u32_e32 v23, vcc, v21, v2, vcc
	v_pk_mov_b32 v[26:27], s[10:11], s[10:11] op_sel:[0,1]
	v_mov_b32_e32 v5, v3
	v_mov_b32_e32 v6, v3
	;; [unrolled: 1-line block ×3, first 2 shown]
	v_readfirstlane_b32 s28, v22
	v_readfirstlane_b32 s29, v23
	v_pk_mov_b32 v[24:25], s[8:9], s[8:9] op_sel:[0,1]
	s_nop 3
	global_store_dwordx4 v50, v[4:7], s[28:29]
	global_store_dwordx4 v50, v[24:27], s[28:29] offset:16
	global_store_dwordx4 v50, v[24:27], s[28:29] offset:32
	global_store_dwordx4 v50, v[24:27], s[28:29] offset:48
	s_and_saveexec_b64 s[28:29], s[4:5]
	s_cbranch_execz .LBB5_744
; %bb.737:                              ;   in Loop: Header=BB5_278 Depth=1
	global_load_dwordx2 v[26:27], v3, s[34:35] offset:32 glc
	global_load_dwordx2 v[6:7], v3, s[34:35] offset:40
	v_mov_b32_e32 v24, s24
	v_mov_b32_e32 v25, s25
	s_waitcnt vmcnt(0)
	v_readfirstlane_b32 s30, v6
	v_readfirstlane_b32 s31, v7
	s_and_b64 s[30:31], s[30:31], s[24:25]
	s_mul_i32 s31, s31, 24
	s_mul_hi_u32 s52, s30, 24
	s_mul_i32 s30, s30, 24
	s_add_i32 s31, s52, s31
	v_mov_b32_e32 v2, s31
	v_add_co_u32_e32 v6, vcc, s30, v18
	v_addc_co_u32_e32 v7, vcc, v19, v2, vcc
	global_store_dwordx2 v[6:7], v[26:27], off
	buffer_wbl2
	s_waitcnt vmcnt(0)
	global_atomic_cmpswap_x2 v[20:21], v3, v[24:27], s[34:35] offset:32 glc
	s_waitcnt vmcnt(0)
	v_cmp_ne_u64_e32 vcc, v[20:21], v[26:27]
	s_and_saveexec_b64 s[30:31], vcc
	s_cbranch_execz .LBB5_740
; %bb.738:                              ;   in Loop: Header=BB5_278 Depth=1
	s_mov_b64 s[52:53], 0
.LBB5_739:                              ;   Parent Loop BB5_278 Depth=1
                                        ; =>  This Inner Loop Header: Depth=2
	s_sleep 1
	global_store_dwordx2 v[6:7], v[20:21], off
	v_mov_b32_e32 v18, s24
	v_mov_b32_e32 v19, s25
	buffer_wbl2
	s_waitcnt vmcnt(0)
	global_atomic_cmpswap_x2 v[18:19], v3, v[18:21], s[34:35] offset:32 glc
	s_waitcnt vmcnt(0)
	v_cmp_eq_u64_e32 vcc, v[18:19], v[20:21]
	s_or_b64 s[52:53], vcc, s[52:53]
	v_pk_mov_b32 v[20:21], v[18:19], v[18:19] op_sel:[0,1]
	s_andn2_b64 exec, exec, s[52:53]
	s_cbranch_execnz .LBB5_739
.LBB5_740:                              ;   in Loop: Header=BB5_278 Depth=1
	s_or_b64 exec, exec, s[30:31]
	global_load_dwordx2 v[6:7], v3, s[34:35] offset:16
	s_mov_b64 s[52:53], exec
	v_mbcnt_lo_u32_b32 v2, s52, 0
	v_mbcnt_hi_u32_b32 v2, s53, v2
	v_cmp_eq_u32_e32 vcc, 0, v2
	s_and_saveexec_b64 s[30:31], vcc
	s_cbranch_execz .LBB5_742
; %bb.741:                              ;   in Loop: Header=BB5_278 Depth=1
	s_bcnt1_i32_b64 s52, s[52:53]
	v_mov_b32_e32 v2, s52
	buffer_wbl2
	s_waitcnt vmcnt(0)
	global_atomic_add_x2 v[6:7], v[2:3], off offset:8
.LBB5_742:                              ;   in Loop: Header=BB5_278 Depth=1
	s_or_b64 exec, exec, s[30:31]
	s_waitcnt vmcnt(0)
	global_load_dwordx2 v[18:19], v[6:7], off offset:16
	s_waitcnt vmcnt(0)
	v_cmp_eq_u64_e32 vcc, 0, v[18:19]
	s_cbranch_vccnz .LBB5_744
; %bb.743:                              ;   in Loop: Header=BB5_278 Depth=1
	global_load_dword v2, v[6:7], off offset:24
	buffer_wbl2
	s_waitcnt vmcnt(0)
	global_store_dwordx2 v[18:19], v[2:3], off
	v_and_b32_e32 v2, 0xffffff, v2
	v_readfirstlane_b32 m0, v2
	s_sendmsg sendmsg(MSG_INTERRUPT)
.LBB5_744:                              ;   in Loop: Header=BB5_278 Depth=1
	s_or_b64 exec, exec, s[28:29]
	v_add_co_u32_e32 v6, vcc, v22, v50
	v_addc_co_u32_e32 v7, vcc, 0, v23, vcc
	s_branch .LBB5_748
.LBB5_745:                              ;   in Loop: Header=BB5_748 Depth=2
	s_or_b64 exec, exec, s[28:29]
	v_readfirstlane_b32 s28, v2
	s_cmp_eq_u32 s28, 0
	s_cbranch_scc1 .LBB5_747
; %bb.746:                              ;   in Loop: Header=BB5_748 Depth=2
	s_sleep 1
	s_cbranch_execnz .LBB5_748
	s_branch .LBB5_750
.LBB5_747:                              ;   in Loop: Header=BB5_278 Depth=1
	s_branch .LBB5_750
.LBB5_748:                              ;   Parent Loop BB5_278 Depth=1
                                        ; =>  This Inner Loop Header: Depth=2
	v_mov_b32_e32 v2, 1
	s_and_saveexec_b64 s[28:29], s[4:5]
	s_cbranch_execz .LBB5_745
; %bb.749:                              ;   in Loop: Header=BB5_748 Depth=2
	global_load_dword v2, v[0:1], off offset:20 glc
	s_waitcnt vmcnt(0)
	buffer_invl2
	buffer_wbinvl1_vol
	v_and_b32_e32 v2, 1, v2
	s_branch .LBB5_745
.LBB5_750:                              ;   in Loop: Header=BB5_278 Depth=1
	global_load_dwordx2 v[0:1], v[6:7], off
	s_and_saveexec_b64 s[28:29], s[4:5]
	s_cbranch_execz .LBB5_754
; %bb.751:                              ;   in Loop: Header=BB5_278 Depth=1
	global_load_dwordx2 v[6:7], v3, s[34:35] offset:40
	global_load_dwordx2 v[22:23], v3, s[34:35] offset:24 glc
	global_load_dwordx2 v[24:25], v3, s[34:35]
	v_mov_b32_e32 v2, s25
	s_waitcnt vmcnt(2)
	v_add_co_u32_e32 v5, vcc, 1, v6
	v_addc_co_u32_e32 v21, vcc, 0, v7, vcc
	v_add_co_u32_e32 v18, vcc, s24, v5
	v_addc_co_u32_e32 v19, vcc, v21, v2, vcc
	v_cmp_eq_u64_e32 vcc, 0, v[18:19]
	v_cndmask_b32_e32 v19, v19, v21, vcc
	v_cndmask_b32_e32 v18, v18, v5, vcc
	v_and_b32_e32 v2, v19, v7
	v_and_b32_e32 v5, v18, v6
	v_mul_lo_u32 v2, v2, 24
	v_mul_hi_u32 v6, v5, 24
	v_mul_lo_u32 v5, v5, 24
	v_add_u32_e32 v2, v6, v2
	s_waitcnt vmcnt(0)
	v_add_co_u32_e32 v6, vcc, v24, v5
	v_addc_co_u32_e32 v7, vcc, v25, v2, vcc
	v_mov_b32_e32 v20, v22
	global_store_dwordx2 v[6:7], v[22:23], off
	v_mov_b32_e32 v21, v23
	buffer_wbl2
	s_waitcnt vmcnt(0)
	global_atomic_cmpswap_x2 v[20:21], v3, v[18:21], s[34:35] offset:24 glc
	s_waitcnt vmcnt(0)
	v_cmp_ne_u64_e32 vcc, v[20:21], v[22:23]
	s_and_b64 exec, exec, vcc
	s_cbranch_execz .LBB5_754
; %bb.752:                              ;   in Loop: Header=BB5_278 Depth=1
	s_mov_b64 s[4:5], 0
.LBB5_753:                              ;   Parent Loop BB5_278 Depth=1
                                        ; =>  This Inner Loop Header: Depth=2
	s_sleep 1
	global_store_dwordx2 v[6:7], v[20:21], off
	buffer_wbl2
	s_waitcnt vmcnt(0)
	global_atomic_cmpswap_x2 v[22:23], v3, v[18:21], s[34:35] offset:24 glc
	s_waitcnt vmcnt(0)
	v_cmp_eq_u64_e32 vcc, v[22:23], v[20:21]
	s_or_b64 s[4:5], vcc, s[4:5]
	v_pk_mov_b32 v[20:21], v[22:23], v[22:23] op_sel:[0,1]
	s_andn2_b64 exec, exec, s[4:5]
	s_cbranch_execnz .LBB5_753
.LBB5_754:                              ;   in Loop: Header=BB5_278 Depth=1
	s_or_b64 exec, exec, s[28:29]
	s_and_b64 vcc, exec, s[14:15]
	s_cbranch_vccz .LBB5_839
; %bb.755:                              ;   in Loop: Header=BB5_278 Depth=1
	s_waitcnt vmcnt(0)
	v_and_b32_e32 v18, -3, v0
	v_mov_b32_e32 v19, v1
	s_mov_b64 s[28:29], 2
	s_getpc_b64 s[24:25]
	s_add_u32 s24, s24, .str.6@rel32@lo+4
	s_addc_u32 s25, s25, .str.6@rel32@hi+12
	s_branch .LBB5_757
.LBB5_756:                              ;   in Loop: Header=BB5_757 Depth=2
	s_or_b64 exec, exec, s[54:55]
	s_sub_u32 s28, s28, s30
	s_subb_u32 s29, s29, s31
	s_add_u32 s24, s24, s30
	s_addc_u32 s25, s25, s31
	s_cmp_eq_u64 s[28:29], 0
	s_cbranch_scc1 .LBB5_838
.LBB5_757:                              ;   Parent Loop BB5_278 Depth=1
                                        ; =>  This Loop Header: Depth=2
                                        ;       Child Loop BB5_760 Depth 3
                                        ;       Child Loop BB5_767 Depth 3
	;; [unrolled: 1-line block ×11, first 2 shown]
	v_cmp_lt_u64_e64 s[4:5], s[28:29], 56
	s_and_b64 s[4:5], s[4:5], exec
	v_cmp_gt_u64_e64 s[4:5], s[28:29], 7
	s_cselect_b32 s31, s29, 0
	s_cselect_b32 s30, s28, 56
	s_and_b64 vcc, exec, s[4:5]
	s_cbranch_vccnz .LBB5_762
; %bb.758:                              ;   in Loop: Header=BB5_757 Depth=2
	s_mov_b64 s[4:5], 0
	s_cmp_eq_u64 s[28:29], 0
	s_waitcnt vmcnt(0)
	v_pk_mov_b32 v[20:21], 0, 0
	s_cbranch_scc1 .LBB5_761
; %bb.759:                              ;   in Loop: Header=BB5_757 Depth=2
	s_lshl_b64 s[52:53], s[30:31], 3
	s_mov_b64 s[54:55], 0
	v_pk_mov_b32 v[20:21], 0, 0
	s_mov_b64 s[56:57], s[24:25]
.LBB5_760:                              ;   Parent Loop BB5_278 Depth=1
                                        ;     Parent Loop BB5_757 Depth=2
                                        ; =>    This Inner Loop Header: Depth=3
	global_load_ubyte v2, v3, s[56:57]
	s_waitcnt vmcnt(0)
	v_and_b32_e32 v2, 0xffff, v2
	v_lshlrev_b64 v[6:7], s54, v[2:3]
	s_add_u32 s54, s54, 8
	s_addc_u32 s55, s55, 0
	s_add_u32 s56, s56, 1
	s_addc_u32 s57, s57, 0
	v_or_b32_e32 v20, v6, v20
	s_cmp_lg_u32 s52, s54
	v_or_b32_e32 v21, v7, v21
	s_cbranch_scc1 .LBB5_760
.LBB5_761:                              ;   in Loop: Header=BB5_757 Depth=2
	s_mov_b32 s56, 0
	s_andn2_b64 vcc, exec, s[4:5]
	s_mov_b64 s[4:5], s[24:25]
	s_cbranch_vccz .LBB5_763
	s_branch .LBB5_764
.LBB5_762:                              ;   in Loop: Header=BB5_757 Depth=2
                                        ; implicit-def: $sgpr56
	s_mov_b64 s[4:5], s[24:25]
.LBB5_763:                              ;   in Loop: Header=BB5_757 Depth=2
	global_load_dwordx2 v[20:21], v3, s[24:25]
	s_add_i32 s56, s30, -8
	s_add_u32 s4, s24, 8
	s_addc_u32 s5, s25, 0
.LBB5_764:                              ;   in Loop: Header=BB5_757 Depth=2
	s_cmp_gt_u32 s56, 7
	s_cbranch_scc1 .LBB5_768
; %bb.765:                              ;   in Loop: Header=BB5_757 Depth=2
	s_cmp_eq_u32 s56, 0
	s_cbranch_scc1 .LBB5_769
; %bb.766:                              ;   in Loop: Header=BB5_757 Depth=2
	s_mov_b64 s[52:53], 0
	v_pk_mov_b32 v[22:23], 0, 0
	s_mov_b64 s[54:55], 0
.LBB5_767:                              ;   Parent Loop BB5_278 Depth=1
                                        ;     Parent Loop BB5_757 Depth=2
                                        ; =>    This Inner Loop Header: Depth=3
	s_add_u32 s58, s4, s54
	s_addc_u32 s59, s5, s55
	global_load_ubyte v2, v3, s[58:59]
	s_add_u32 s54, s54, 1
	s_addc_u32 s55, s55, 0
	s_waitcnt vmcnt(0)
	v_and_b32_e32 v2, 0xffff, v2
	v_lshlrev_b64 v[6:7], s52, v[2:3]
	s_add_u32 s52, s52, 8
	s_addc_u32 s53, s53, 0
	v_or_b32_e32 v22, v6, v22
	s_cmp_lg_u32 s56, s54
	v_or_b32_e32 v23, v7, v23
	s_cbranch_scc1 .LBB5_767
	s_branch .LBB5_770
.LBB5_768:                              ;   in Loop: Header=BB5_757 Depth=2
                                        ; implicit-def: $vgpr22_vgpr23
                                        ; implicit-def: $sgpr57
	s_branch .LBB5_771
.LBB5_769:                              ;   in Loop: Header=BB5_757 Depth=2
	v_pk_mov_b32 v[22:23], 0, 0
.LBB5_770:                              ;   in Loop: Header=BB5_757 Depth=2
	s_mov_b32 s57, 0
	s_cbranch_execnz .LBB5_772
.LBB5_771:                              ;   in Loop: Header=BB5_757 Depth=2
	global_load_dwordx2 v[22:23], v3, s[4:5]
	s_add_i32 s57, s56, -8
	s_add_u32 s4, s4, 8
	s_addc_u32 s5, s5, 0
.LBB5_772:                              ;   in Loop: Header=BB5_757 Depth=2
	s_cmp_gt_u32 s57, 7
	s_cbranch_scc1 .LBB5_776
; %bb.773:                              ;   in Loop: Header=BB5_757 Depth=2
	s_cmp_eq_u32 s57, 0
	s_cbranch_scc1 .LBB5_777
; %bb.774:                              ;   in Loop: Header=BB5_757 Depth=2
	s_mov_b64 s[52:53], 0
	v_pk_mov_b32 v[24:25], 0, 0
	s_mov_b64 s[54:55], 0
.LBB5_775:                              ;   Parent Loop BB5_278 Depth=1
                                        ;     Parent Loop BB5_757 Depth=2
                                        ; =>    This Inner Loop Header: Depth=3
	s_add_u32 s58, s4, s54
	s_addc_u32 s59, s5, s55
	global_load_ubyte v2, v3, s[58:59]
	s_add_u32 s54, s54, 1
	s_addc_u32 s55, s55, 0
	s_waitcnt vmcnt(0)
	v_and_b32_e32 v2, 0xffff, v2
	v_lshlrev_b64 v[6:7], s52, v[2:3]
	s_add_u32 s52, s52, 8
	s_addc_u32 s53, s53, 0
	v_or_b32_e32 v24, v6, v24
	s_cmp_lg_u32 s57, s54
	v_or_b32_e32 v25, v7, v25
	s_cbranch_scc1 .LBB5_775
	s_branch .LBB5_778
.LBB5_776:                              ;   in Loop: Header=BB5_757 Depth=2
                                        ; implicit-def: $sgpr56
	s_branch .LBB5_779
.LBB5_777:                              ;   in Loop: Header=BB5_757 Depth=2
	v_pk_mov_b32 v[24:25], 0, 0
.LBB5_778:                              ;   in Loop: Header=BB5_757 Depth=2
	s_mov_b32 s56, 0
	s_cbranch_execnz .LBB5_780
.LBB5_779:                              ;   in Loop: Header=BB5_757 Depth=2
	global_load_dwordx2 v[24:25], v3, s[4:5]
	s_add_i32 s56, s57, -8
	s_add_u32 s4, s4, 8
	s_addc_u32 s5, s5, 0
.LBB5_780:                              ;   in Loop: Header=BB5_757 Depth=2
	s_cmp_gt_u32 s56, 7
	s_cbranch_scc1 .LBB5_784
; %bb.781:                              ;   in Loop: Header=BB5_757 Depth=2
	s_cmp_eq_u32 s56, 0
	s_cbranch_scc1 .LBB5_785
; %bb.782:                              ;   in Loop: Header=BB5_757 Depth=2
	s_mov_b64 s[52:53], 0
	v_pk_mov_b32 v[26:27], 0, 0
	s_mov_b64 s[54:55], 0
.LBB5_783:                              ;   Parent Loop BB5_278 Depth=1
                                        ;     Parent Loop BB5_757 Depth=2
                                        ; =>    This Inner Loop Header: Depth=3
	s_add_u32 s58, s4, s54
	s_addc_u32 s59, s5, s55
	global_load_ubyte v2, v3, s[58:59]
	s_add_u32 s54, s54, 1
	s_addc_u32 s55, s55, 0
	s_waitcnt vmcnt(0)
	v_and_b32_e32 v2, 0xffff, v2
	v_lshlrev_b64 v[6:7], s52, v[2:3]
	s_add_u32 s52, s52, 8
	s_addc_u32 s53, s53, 0
	v_or_b32_e32 v26, v6, v26
	s_cmp_lg_u32 s56, s54
	v_or_b32_e32 v27, v7, v27
	s_cbranch_scc1 .LBB5_783
	s_branch .LBB5_786
.LBB5_784:                              ;   in Loop: Header=BB5_757 Depth=2
                                        ; implicit-def: $vgpr26_vgpr27
                                        ; implicit-def: $sgpr57
	s_branch .LBB5_787
.LBB5_785:                              ;   in Loop: Header=BB5_757 Depth=2
	v_pk_mov_b32 v[26:27], 0, 0
.LBB5_786:                              ;   in Loop: Header=BB5_757 Depth=2
	s_mov_b32 s57, 0
	s_cbranch_execnz .LBB5_788
.LBB5_787:                              ;   in Loop: Header=BB5_757 Depth=2
	global_load_dwordx2 v[26:27], v3, s[4:5]
	s_add_i32 s57, s56, -8
	s_add_u32 s4, s4, 8
	s_addc_u32 s5, s5, 0
.LBB5_788:                              ;   in Loop: Header=BB5_757 Depth=2
	s_cmp_gt_u32 s57, 7
	s_cbranch_scc1 .LBB5_792
; %bb.789:                              ;   in Loop: Header=BB5_757 Depth=2
	s_cmp_eq_u32 s57, 0
	s_cbranch_scc1 .LBB5_793
; %bb.790:                              ;   in Loop: Header=BB5_757 Depth=2
	s_mov_b64 s[52:53], 0
	v_pk_mov_b32 v[28:29], 0, 0
	s_mov_b64 s[54:55], 0
.LBB5_791:                              ;   Parent Loop BB5_278 Depth=1
                                        ;     Parent Loop BB5_757 Depth=2
                                        ; =>    This Inner Loop Header: Depth=3
	s_add_u32 s58, s4, s54
	s_addc_u32 s59, s5, s55
	global_load_ubyte v2, v3, s[58:59]
	s_add_u32 s54, s54, 1
	s_addc_u32 s55, s55, 0
	s_waitcnt vmcnt(0)
	v_and_b32_e32 v2, 0xffff, v2
	v_lshlrev_b64 v[6:7], s52, v[2:3]
	s_add_u32 s52, s52, 8
	s_addc_u32 s53, s53, 0
	v_or_b32_e32 v28, v6, v28
	s_cmp_lg_u32 s57, s54
	v_or_b32_e32 v29, v7, v29
	s_cbranch_scc1 .LBB5_791
	s_branch .LBB5_794
.LBB5_792:                              ;   in Loop: Header=BB5_757 Depth=2
                                        ; implicit-def: $sgpr56
	s_branch .LBB5_795
.LBB5_793:                              ;   in Loop: Header=BB5_757 Depth=2
	v_pk_mov_b32 v[28:29], 0, 0
.LBB5_794:                              ;   in Loop: Header=BB5_757 Depth=2
	s_mov_b32 s56, 0
	s_cbranch_execnz .LBB5_796
.LBB5_795:                              ;   in Loop: Header=BB5_757 Depth=2
	global_load_dwordx2 v[28:29], v3, s[4:5]
	s_add_i32 s56, s57, -8
	s_add_u32 s4, s4, 8
	s_addc_u32 s5, s5, 0
.LBB5_796:                              ;   in Loop: Header=BB5_757 Depth=2
	s_cmp_gt_u32 s56, 7
	s_cbranch_scc1 .LBB5_800
; %bb.797:                              ;   in Loop: Header=BB5_757 Depth=2
	s_cmp_eq_u32 s56, 0
	s_cbranch_scc1 .LBB5_801
; %bb.798:                              ;   in Loop: Header=BB5_757 Depth=2
	s_mov_b64 s[52:53], 0
	v_pk_mov_b32 v[30:31], 0, 0
	s_mov_b64 s[54:55], 0
.LBB5_799:                              ;   Parent Loop BB5_278 Depth=1
                                        ;     Parent Loop BB5_757 Depth=2
                                        ; =>    This Inner Loop Header: Depth=3
	s_add_u32 s58, s4, s54
	s_addc_u32 s59, s5, s55
	global_load_ubyte v2, v3, s[58:59]
	s_add_u32 s54, s54, 1
	s_addc_u32 s55, s55, 0
	s_waitcnt vmcnt(0)
	v_and_b32_e32 v2, 0xffff, v2
	v_lshlrev_b64 v[6:7], s52, v[2:3]
	s_add_u32 s52, s52, 8
	s_addc_u32 s53, s53, 0
	v_or_b32_e32 v30, v6, v30
	s_cmp_lg_u32 s56, s54
	v_or_b32_e32 v31, v7, v31
	s_cbranch_scc1 .LBB5_799
	s_branch .LBB5_802
.LBB5_800:                              ;   in Loop: Header=BB5_757 Depth=2
                                        ; implicit-def: $vgpr30_vgpr31
                                        ; implicit-def: $sgpr57
	s_branch .LBB5_803
.LBB5_801:                              ;   in Loop: Header=BB5_757 Depth=2
	v_pk_mov_b32 v[30:31], 0, 0
.LBB5_802:                              ;   in Loop: Header=BB5_757 Depth=2
	s_mov_b32 s57, 0
	s_cbranch_execnz .LBB5_804
.LBB5_803:                              ;   in Loop: Header=BB5_757 Depth=2
	global_load_dwordx2 v[30:31], v3, s[4:5]
	s_add_i32 s57, s56, -8
	s_add_u32 s4, s4, 8
	s_addc_u32 s5, s5, 0
.LBB5_804:                              ;   in Loop: Header=BB5_757 Depth=2
	s_cmp_gt_u32 s57, 7
	s_cbranch_scc1 .LBB5_808
; %bb.805:                              ;   in Loop: Header=BB5_757 Depth=2
	s_cmp_eq_u32 s57, 0
	s_cbranch_scc1 .LBB5_809
; %bb.806:                              ;   in Loop: Header=BB5_757 Depth=2
	s_mov_b64 s[52:53], 0
	v_pk_mov_b32 v[32:33], 0, 0
	s_mov_b64 s[54:55], s[4:5]
.LBB5_807:                              ;   Parent Loop BB5_278 Depth=1
                                        ;     Parent Loop BB5_757 Depth=2
                                        ; =>    This Inner Loop Header: Depth=3
	global_load_ubyte v2, v3, s[54:55]
	s_add_i32 s57, s57, -1
	s_waitcnt vmcnt(0)
	v_and_b32_e32 v2, 0xffff, v2
	v_lshlrev_b64 v[6:7], s52, v[2:3]
	s_add_u32 s52, s52, 8
	s_addc_u32 s53, s53, 0
	s_add_u32 s54, s54, 1
	s_addc_u32 s55, s55, 0
	v_or_b32_e32 v32, v6, v32
	s_cmp_lg_u32 s57, 0
	v_or_b32_e32 v33, v7, v33
	s_cbranch_scc1 .LBB5_807
	s_branch .LBB5_810
.LBB5_808:                              ;   in Loop: Header=BB5_757 Depth=2
	s_branch .LBB5_811
.LBB5_809:                              ;   in Loop: Header=BB5_757 Depth=2
	v_pk_mov_b32 v[32:33], 0, 0
.LBB5_810:                              ;   in Loop: Header=BB5_757 Depth=2
	s_cbranch_execnz .LBB5_812
.LBB5_811:                              ;   in Loop: Header=BB5_757 Depth=2
	global_load_dwordx2 v[32:33], v3, s[4:5]
.LBB5_812:                              ;   in Loop: Header=BB5_757 Depth=2
	v_readfirstlane_b32 s4, v51
	v_cmp_eq_u32_e64 s[4:5], s4, v51
	v_pk_mov_b32 v[6:7], 0, 0
	s_and_saveexec_b64 s[52:53], s[4:5]
	s_cbranch_execz .LBB5_818
; %bb.813:                              ;   in Loop: Header=BB5_757 Depth=2
	global_load_dwordx2 v[36:37], v3, s[34:35] offset:24 glc
	s_waitcnt vmcnt(0)
	buffer_invl2
	buffer_wbinvl1_vol
	global_load_dwordx2 v[6:7], v3, s[34:35] offset:40
	global_load_dwordx2 v[34:35], v3, s[34:35]
	s_waitcnt vmcnt(1)
	v_and_b32_e32 v2, v6, v36
	v_and_b32_e32 v5, v7, v37
	v_mul_lo_u32 v5, v5, 24
	v_mul_hi_u32 v6, v2, 24
	v_mul_lo_u32 v2, v2, 24
	v_add_u32_e32 v5, v6, v5
	s_waitcnt vmcnt(0)
	v_add_co_u32_e32 v6, vcc, v34, v2
	v_addc_co_u32_e32 v7, vcc, v35, v5, vcc
	global_load_dwordx2 v[34:35], v[6:7], off glc
	s_waitcnt vmcnt(0)
	global_atomic_cmpswap_x2 v[6:7], v3, v[34:37], s[34:35] offset:24 glc
	s_waitcnt vmcnt(0)
	buffer_invl2
	buffer_wbinvl1_vol
	v_cmp_ne_u64_e32 vcc, v[6:7], v[36:37]
	s_and_saveexec_b64 s[54:55], vcc
	s_cbranch_execz .LBB5_817
; %bb.814:                              ;   in Loop: Header=BB5_757 Depth=2
	s_mov_b64 s[56:57], 0
.LBB5_815:                              ;   Parent Loop BB5_278 Depth=1
                                        ;     Parent Loop BB5_757 Depth=2
                                        ; =>    This Inner Loop Header: Depth=3
	s_sleep 1
	global_load_dwordx2 v[34:35], v3, s[34:35] offset:40
	global_load_dwordx2 v[38:39], v3, s[34:35]
	v_pk_mov_b32 v[36:37], v[6:7], v[6:7] op_sel:[0,1]
	s_waitcnt vmcnt(1)
	v_and_b32_e32 v2, v34, v36
	s_waitcnt vmcnt(0)
	v_mad_u64_u32 v[6:7], s[58:59], v2, 24, v[38:39]
	v_and_b32_e32 v5, v35, v37
	v_mov_b32_e32 v2, v7
	v_mad_u64_u32 v[34:35], s[58:59], v5, 24, v[2:3]
	v_mov_b32_e32 v7, v34
	global_load_dwordx2 v[34:35], v[6:7], off glc
	s_waitcnt vmcnt(0)
	global_atomic_cmpswap_x2 v[6:7], v3, v[34:37], s[34:35] offset:24 glc
	s_waitcnt vmcnt(0)
	buffer_invl2
	buffer_wbinvl1_vol
	v_cmp_eq_u64_e32 vcc, v[6:7], v[36:37]
	s_or_b64 s[56:57], vcc, s[56:57]
	s_andn2_b64 exec, exec, s[56:57]
	s_cbranch_execnz .LBB5_815
; %bb.816:                              ;   in Loop: Header=BB5_757 Depth=2
	s_or_b64 exec, exec, s[56:57]
.LBB5_817:                              ;   in Loop: Header=BB5_757 Depth=2
	s_or_b64 exec, exec, s[54:55]
.LBB5_818:                              ;   in Loop: Header=BB5_757 Depth=2
	s_or_b64 exec, exec, s[52:53]
	global_load_dwordx2 v[38:39], v3, s[34:35] offset:40
	global_load_dwordx4 v[34:37], v3, s[34:35]
	v_readfirstlane_b32 s52, v6
	v_readfirstlane_b32 s53, v7
	s_mov_b64 s[54:55], exec
	s_waitcnt vmcnt(1)
	v_readfirstlane_b32 s56, v38
	v_readfirstlane_b32 s57, v39
	s_and_b64 s[56:57], s[52:53], s[56:57]
	s_mul_i32 s58, s57, 24
	s_mul_hi_u32 s59, s56, 24
	s_mul_i32 s61, s56, 24
	s_add_i32 s58, s59, s58
	v_mov_b32_e32 v2, s58
	s_waitcnt vmcnt(0)
	v_add_co_u32_e32 v38, vcc, s61, v34
	v_addc_co_u32_e32 v39, vcc, v35, v2, vcc
	s_and_saveexec_b64 s[58:59], s[4:5]
	s_cbranch_execz .LBB5_820
; %bb.819:                              ;   in Loop: Header=BB5_757 Depth=2
	v_pk_mov_b32 v[6:7], s[54:55], s[54:55] op_sel:[0,1]
	global_store_dwordx4 v[38:39], v[6:9], off offset:8
.LBB5_820:                              ;   in Loop: Header=BB5_757 Depth=2
	s_or_b64 exec, exec, s[58:59]
	s_lshl_b64 s[54:55], s[56:57], 12
	v_mov_b32_e32 v2, s55
	v_add_co_u32_e32 v6, vcc, s54, v36
	v_addc_co_u32_e32 v5, vcc, v37, v2, vcc
	v_or_b32_e32 v2, 2, v18
	v_cmp_gt_u64_e64 vcc, s[28:29], 56
	s_lshl_b32 s54, s30, 2
	v_cndmask_b32_e32 v2, v2, v18, vcc
	s_add_i32 s54, s54, 28
	s_and_b32 s54, s54, 0x1e0
	v_and_b32_e32 v2, 0xffffff1f, v2
	v_or_b32_e32 v18, s54, v2
	v_readfirstlane_b32 s54, v6
	v_readfirstlane_b32 s55, v5
	s_nop 4
	global_store_dwordx4 v50, v[18:21], s[54:55]
	global_store_dwordx4 v50, v[22:25], s[54:55] offset:16
	global_store_dwordx4 v50, v[26:29], s[54:55] offset:32
	;; [unrolled: 1-line block ×3, first 2 shown]
	s_and_saveexec_b64 s[54:55], s[4:5]
	s_cbranch_execz .LBB5_828
; %bb.821:                              ;   in Loop: Header=BB5_757 Depth=2
	global_load_dwordx2 v[26:27], v3, s[34:35] offset:32 glc
	global_load_dwordx2 v[18:19], v3, s[34:35] offset:40
	v_mov_b32_e32 v24, s52
	v_mov_b32_e32 v25, s53
	s_waitcnt vmcnt(0)
	v_readfirstlane_b32 s56, v18
	v_readfirstlane_b32 s57, v19
	s_and_b64 s[56:57], s[56:57], s[52:53]
	s_mul_i32 s57, s57, 24
	s_mul_hi_u32 s58, s56, 24
	s_mul_i32 s56, s56, 24
	s_add_i32 s57, s58, s57
	v_mov_b32_e32 v2, s57
	v_add_co_u32_e32 v22, vcc, s56, v34
	v_addc_co_u32_e32 v23, vcc, v35, v2, vcc
	global_store_dwordx2 v[22:23], v[26:27], off
	buffer_wbl2
	s_waitcnt vmcnt(0)
	global_atomic_cmpswap_x2 v[20:21], v3, v[24:27], s[34:35] offset:32 glc
	s_waitcnt vmcnt(0)
	v_cmp_ne_u64_e32 vcc, v[20:21], v[26:27]
	s_and_saveexec_b64 s[56:57], vcc
	s_cbranch_execz .LBB5_824
; %bb.822:                              ;   in Loop: Header=BB5_757 Depth=2
	s_mov_b64 s[58:59], 0
.LBB5_823:                              ;   Parent Loop BB5_278 Depth=1
                                        ;     Parent Loop BB5_757 Depth=2
                                        ; =>    This Inner Loop Header: Depth=3
	s_sleep 1
	global_store_dwordx2 v[22:23], v[20:21], off
	v_mov_b32_e32 v18, s52
	v_mov_b32_e32 v19, s53
	buffer_wbl2
	s_waitcnt vmcnt(0)
	global_atomic_cmpswap_x2 v[18:19], v3, v[18:21], s[34:35] offset:32 glc
	s_waitcnt vmcnt(0)
	v_cmp_eq_u64_e32 vcc, v[18:19], v[20:21]
	s_or_b64 s[58:59], vcc, s[58:59]
	v_pk_mov_b32 v[20:21], v[18:19], v[18:19] op_sel:[0,1]
	s_andn2_b64 exec, exec, s[58:59]
	s_cbranch_execnz .LBB5_823
.LBB5_824:                              ;   in Loop: Header=BB5_757 Depth=2
	s_or_b64 exec, exec, s[56:57]
	global_load_dwordx2 v[18:19], v3, s[34:35] offset:16
	s_mov_b64 s[58:59], exec
	v_mbcnt_lo_u32_b32 v2, s58, 0
	v_mbcnt_hi_u32_b32 v2, s59, v2
	v_cmp_eq_u32_e32 vcc, 0, v2
	s_and_saveexec_b64 s[56:57], vcc
	s_cbranch_execz .LBB5_826
; %bb.825:                              ;   in Loop: Header=BB5_757 Depth=2
	s_bcnt1_i32_b64 s58, s[58:59]
	v_mov_b32_e32 v2, s58
	buffer_wbl2
	s_waitcnt vmcnt(0)
	global_atomic_add_x2 v[18:19], v[2:3], off offset:8
.LBB5_826:                              ;   in Loop: Header=BB5_757 Depth=2
	s_or_b64 exec, exec, s[56:57]
	s_waitcnt vmcnt(0)
	global_load_dwordx2 v[20:21], v[18:19], off offset:16
	s_waitcnt vmcnt(0)
	v_cmp_eq_u64_e32 vcc, 0, v[20:21]
	s_cbranch_vccnz .LBB5_828
; %bb.827:                              ;   in Loop: Header=BB5_757 Depth=2
	global_load_dword v2, v[18:19], off offset:24
	buffer_wbl2
	s_waitcnt vmcnt(0)
	global_store_dwordx2 v[20:21], v[2:3], off
	v_and_b32_e32 v2, 0xffffff, v2
	v_readfirstlane_b32 m0, v2
	s_sendmsg sendmsg(MSG_INTERRUPT)
.LBB5_828:                              ;   in Loop: Header=BB5_757 Depth=2
	s_or_b64 exec, exec, s[54:55]
	v_add_co_u32_e32 v6, vcc, v6, v50
	v_addc_co_u32_e32 v7, vcc, 0, v5, vcc
	s_branch .LBB5_832
.LBB5_829:                              ;   in Loop: Header=BB5_832 Depth=3
	s_or_b64 exec, exec, s[54:55]
	v_readfirstlane_b32 s54, v2
	s_cmp_eq_u32 s54, 0
	s_cbranch_scc1 .LBB5_831
; %bb.830:                              ;   in Loop: Header=BB5_832 Depth=3
	s_sleep 1
	s_cbranch_execnz .LBB5_832
	s_branch .LBB5_834
.LBB5_831:                              ;   in Loop: Header=BB5_757 Depth=2
	s_branch .LBB5_834
.LBB5_832:                              ;   Parent Loop BB5_278 Depth=1
                                        ;     Parent Loop BB5_757 Depth=2
                                        ; =>    This Inner Loop Header: Depth=3
	v_mov_b32_e32 v2, 1
	s_and_saveexec_b64 s[54:55], s[4:5]
	s_cbranch_execz .LBB5_829
; %bb.833:                              ;   in Loop: Header=BB5_832 Depth=3
	global_load_dword v2, v[38:39], off offset:20 glc
	s_waitcnt vmcnt(0)
	buffer_invl2
	buffer_wbinvl1_vol
	v_and_b32_e32 v2, 1, v2
	s_branch .LBB5_829
.LBB5_834:                              ;   in Loop: Header=BB5_757 Depth=2
	global_load_dwordx4 v[18:21], v[6:7], off
	s_and_saveexec_b64 s[54:55], s[4:5]
	s_cbranch_execz .LBB5_756
; %bb.835:                              ;   in Loop: Header=BB5_757 Depth=2
	global_load_dwordx2 v[6:7], v3, s[34:35] offset:40
	global_load_dwordx2 v[24:25], v3, s[34:35] offset:24 glc
	global_load_dwordx2 v[26:27], v3, s[34:35]
	v_mov_b32_e32 v2, s53
	s_waitcnt vmcnt(2)
	v_add_co_u32_e32 v5, vcc, 1, v6
	v_addc_co_u32_e32 v23, vcc, 0, v7, vcc
	v_add_co_u32_e32 v20, vcc, s52, v5
	v_addc_co_u32_e32 v21, vcc, v23, v2, vcc
	v_cmp_eq_u64_e32 vcc, 0, v[20:21]
	v_cndmask_b32_e32 v21, v21, v23, vcc
	v_cndmask_b32_e32 v20, v20, v5, vcc
	v_and_b32_e32 v2, v21, v7
	v_and_b32_e32 v5, v20, v6
	v_mul_lo_u32 v2, v2, 24
	v_mul_hi_u32 v6, v5, 24
	v_mul_lo_u32 v5, v5, 24
	v_add_u32_e32 v2, v6, v2
	s_waitcnt vmcnt(0)
	v_add_co_u32_e32 v6, vcc, v26, v5
	v_addc_co_u32_e32 v7, vcc, v27, v2, vcc
	v_mov_b32_e32 v22, v24
	global_store_dwordx2 v[6:7], v[24:25], off
	v_mov_b32_e32 v23, v25
	buffer_wbl2
	s_waitcnt vmcnt(0)
	global_atomic_cmpswap_x2 v[22:23], v3, v[20:23], s[34:35] offset:24 glc
	s_waitcnt vmcnt(0)
	v_cmp_ne_u64_e32 vcc, v[22:23], v[24:25]
	s_and_b64 exec, exec, vcc
	s_cbranch_execz .LBB5_756
; %bb.836:                              ;   in Loop: Header=BB5_757 Depth=2
	s_mov_b64 s[4:5], 0
.LBB5_837:                              ;   Parent Loop BB5_278 Depth=1
                                        ;     Parent Loop BB5_757 Depth=2
                                        ; =>    This Inner Loop Header: Depth=3
	s_sleep 1
	global_store_dwordx2 v[6:7], v[22:23], off
	buffer_wbl2
	s_waitcnt vmcnt(0)
	global_atomic_cmpswap_x2 v[24:25], v3, v[20:23], s[34:35] offset:24 glc
	s_waitcnt vmcnt(0)
	v_cmp_eq_u64_e32 vcc, v[24:25], v[22:23]
	s_or_b64 s[4:5], vcc, s[4:5]
	v_pk_mov_b32 v[22:23], v[24:25], v[24:25] op_sel:[0,1]
	s_andn2_b64 exec, exec, s[4:5]
	s_cbranch_execnz .LBB5_837
	s_branch .LBB5_756
.LBB5_838:                              ;   in Loop: Header=BB5_278 Depth=1
	s_branch .LBB5_867
.LBB5_839:                              ;   in Loop: Header=BB5_278 Depth=1
	s_cbranch_execz .LBB5_867
; %bb.840:                              ;   in Loop: Header=BB5_278 Depth=1
	v_readfirstlane_b32 s4, v51
	v_cmp_eq_u32_e64 s[4:5], s4, v51
	v_pk_mov_b32 v[6:7], 0, 0
	s_and_saveexec_b64 s[24:25], s[4:5]
	s_cbranch_execz .LBB5_846
; %bb.841:                              ;   in Loop: Header=BB5_278 Depth=1
	global_load_dwordx2 v[20:21], v3, s[34:35] offset:24 glc
	s_waitcnt vmcnt(0)
	buffer_invl2
	buffer_wbinvl1_vol
	global_load_dwordx2 v[6:7], v3, s[34:35] offset:40
	global_load_dwordx2 v[18:19], v3, s[34:35]
	s_waitcnt vmcnt(1)
	v_and_b32_e32 v2, v6, v20
	v_and_b32_e32 v5, v7, v21
	v_mul_lo_u32 v5, v5, 24
	v_mul_hi_u32 v6, v2, 24
	v_mul_lo_u32 v2, v2, 24
	v_add_u32_e32 v5, v6, v5
	s_waitcnt vmcnt(0)
	v_add_co_u32_e32 v6, vcc, v18, v2
	v_addc_co_u32_e32 v7, vcc, v19, v5, vcc
	global_load_dwordx2 v[18:19], v[6:7], off glc
	s_waitcnt vmcnt(0)
	global_atomic_cmpswap_x2 v[6:7], v3, v[18:21], s[34:35] offset:24 glc
	s_waitcnt vmcnt(0)
	buffer_invl2
	buffer_wbinvl1_vol
	v_cmp_ne_u64_e32 vcc, v[6:7], v[20:21]
	s_and_saveexec_b64 s[28:29], vcc
	s_cbranch_execz .LBB5_845
; %bb.842:                              ;   in Loop: Header=BB5_278 Depth=1
	s_mov_b64 s[30:31], 0
.LBB5_843:                              ;   Parent Loop BB5_278 Depth=1
                                        ; =>  This Inner Loop Header: Depth=2
	s_sleep 1
	global_load_dwordx2 v[18:19], v3, s[34:35] offset:40
	global_load_dwordx2 v[22:23], v3, s[34:35]
	v_pk_mov_b32 v[20:21], v[6:7], v[6:7] op_sel:[0,1]
	s_waitcnt vmcnt(1)
	v_and_b32_e32 v2, v18, v20
	s_waitcnt vmcnt(0)
	v_mad_u64_u32 v[6:7], s[52:53], v2, 24, v[22:23]
	v_and_b32_e32 v5, v19, v21
	v_mov_b32_e32 v2, v7
	v_mad_u64_u32 v[18:19], s[52:53], v5, 24, v[2:3]
	v_mov_b32_e32 v7, v18
	global_load_dwordx2 v[18:19], v[6:7], off glc
	s_waitcnt vmcnt(0)
	global_atomic_cmpswap_x2 v[6:7], v3, v[18:21], s[34:35] offset:24 glc
	s_waitcnt vmcnt(0)
	buffer_invl2
	buffer_wbinvl1_vol
	v_cmp_eq_u64_e32 vcc, v[6:7], v[20:21]
	s_or_b64 s[30:31], vcc, s[30:31]
	s_andn2_b64 exec, exec, s[30:31]
	s_cbranch_execnz .LBB5_843
; %bb.844:                              ;   in Loop: Header=BB5_278 Depth=1
	s_or_b64 exec, exec, s[30:31]
.LBB5_845:                              ;   in Loop: Header=BB5_278 Depth=1
	s_or_b64 exec, exec, s[28:29]
.LBB5_846:                              ;   in Loop: Header=BB5_278 Depth=1
	s_or_b64 exec, exec, s[24:25]
	global_load_dwordx2 v[22:23], v3, s[34:35] offset:40
	global_load_dwordx4 v[18:21], v3, s[34:35]
	v_readfirstlane_b32 s24, v6
	v_readfirstlane_b32 s25, v7
	s_mov_b64 s[28:29], exec
	s_waitcnt vmcnt(1)
	v_readfirstlane_b32 s30, v22
	v_readfirstlane_b32 s31, v23
	s_and_b64 s[30:31], s[24:25], s[30:31]
	s_mul_i32 s52, s31, 24
	s_mul_hi_u32 s53, s30, 24
	s_mul_i32 s54, s30, 24
	s_add_i32 s52, s53, s52
	v_mov_b32_e32 v2, s52
	s_waitcnt vmcnt(0)
	v_add_co_u32_e32 v22, vcc, s54, v18
	v_addc_co_u32_e32 v23, vcc, v19, v2, vcc
	s_and_saveexec_b64 s[52:53], s[4:5]
	s_cbranch_execz .LBB5_848
; %bb.847:                              ;   in Loop: Header=BB5_278 Depth=1
	v_pk_mov_b32 v[6:7], s[28:29], s[28:29] op_sel:[0,1]
	global_store_dwordx4 v[22:23], v[6:9], off offset:8
.LBB5_848:                              ;   in Loop: Header=BB5_278 Depth=1
	s_or_b64 exec, exec, s[52:53]
	s_lshl_b64 s[28:29], s[30:31], 12
	v_mov_b32_e32 v2, s29
	v_add_co_u32_e32 v6, vcc, s28, v20
	v_addc_co_u32_e32 v5, vcc, v21, v2, vcc
	v_pk_mov_b32 v[26:27], s[10:11], s[10:11] op_sel:[0,1]
	v_and_or_b32 v0, v0, s60, 34
	v_mov_b32_e32 v2, v3
	v_readfirstlane_b32 s28, v6
	v_readfirstlane_b32 s29, v5
	v_pk_mov_b32 v[24:25], s[8:9], s[8:9] op_sel:[0,1]
	s_nop 3
	global_store_dwordx4 v50, v[0:3], s[28:29]
	global_store_dwordx4 v50, v[24:27], s[28:29] offset:16
	global_store_dwordx4 v50, v[24:27], s[28:29] offset:32
	;; [unrolled: 1-line block ×3, first 2 shown]
	s_and_saveexec_b64 s[28:29], s[4:5]
	s_cbranch_execz .LBB5_856
; %bb.849:                              ;   in Loop: Header=BB5_278 Depth=1
	global_load_dwordx2 v[26:27], v3, s[34:35] offset:32 glc
	global_load_dwordx2 v[0:1], v3, s[34:35] offset:40
	v_mov_b32_e32 v24, s24
	v_mov_b32_e32 v25, s25
	s_waitcnt vmcnt(0)
	v_readfirstlane_b32 s30, v0
	v_readfirstlane_b32 s31, v1
	s_and_b64 s[30:31], s[30:31], s[24:25]
	s_mul_i32 s31, s31, 24
	s_mul_hi_u32 s52, s30, 24
	s_mul_i32 s30, s30, 24
	s_add_i32 s31, s52, s31
	v_mov_b32_e32 v1, s31
	v_add_co_u32_e32 v0, vcc, s30, v18
	v_addc_co_u32_e32 v1, vcc, v19, v1, vcc
	global_store_dwordx2 v[0:1], v[26:27], off
	buffer_wbl2
	s_waitcnt vmcnt(0)
	global_atomic_cmpswap_x2 v[20:21], v3, v[24:27], s[34:35] offset:32 glc
	s_waitcnt vmcnt(0)
	v_cmp_ne_u64_e32 vcc, v[20:21], v[26:27]
	s_and_saveexec_b64 s[30:31], vcc
	s_cbranch_execz .LBB5_852
; %bb.850:                              ;   in Loop: Header=BB5_278 Depth=1
	s_mov_b64 s[52:53], 0
.LBB5_851:                              ;   Parent Loop BB5_278 Depth=1
                                        ; =>  This Inner Loop Header: Depth=2
	s_sleep 1
	global_store_dwordx2 v[0:1], v[20:21], off
	v_mov_b32_e32 v18, s24
	v_mov_b32_e32 v19, s25
	buffer_wbl2
	s_waitcnt vmcnt(0)
	global_atomic_cmpswap_x2 v[6:7], v3, v[18:21], s[34:35] offset:32 glc
	s_waitcnt vmcnt(0)
	v_cmp_eq_u64_e32 vcc, v[6:7], v[20:21]
	s_or_b64 s[52:53], vcc, s[52:53]
	v_pk_mov_b32 v[20:21], v[6:7], v[6:7] op_sel:[0,1]
	s_andn2_b64 exec, exec, s[52:53]
	s_cbranch_execnz .LBB5_851
.LBB5_852:                              ;   in Loop: Header=BB5_278 Depth=1
	s_or_b64 exec, exec, s[30:31]
	global_load_dwordx2 v[0:1], v3, s[34:35] offset:16
	s_mov_b64 s[52:53], exec
	v_mbcnt_lo_u32_b32 v2, s52, 0
	v_mbcnt_hi_u32_b32 v2, s53, v2
	v_cmp_eq_u32_e32 vcc, 0, v2
	s_and_saveexec_b64 s[30:31], vcc
	s_cbranch_execz .LBB5_854
; %bb.853:                              ;   in Loop: Header=BB5_278 Depth=1
	s_bcnt1_i32_b64 s52, s[52:53]
	v_mov_b32_e32 v2, s52
	buffer_wbl2
	s_waitcnt vmcnt(0)
	global_atomic_add_x2 v[0:1], v[2:3], off offset:8
.LBB5_854:                              ;   in Loop: Header=BB5_278 Depth=1
	s_or_b64 exec, exec, s[30:31]
	s_waitcnt vmcnt(0)
	global_load_dwordx2 v[6:7], v[0:1], off offset:16
	s_waitcnt vmcnt(0)
	v_cmp_eq_u64_e32 vcc, 0, v[6:7]
	s_cbranch_vccnz .LBB5_856
; %bb.855:                              ;   in Loop: Header=BB5_278 Depth=1
	global_load_dword v2, v[0:1], off offset:24
	s_waitcnt vmcnt(0)
	v_and_b32_e32 v0, 0xffffff, v2
	v_readfirstlane_b32 m0, v0
	buffer_wbl2
	global_store_dwordx2 v[6:7], v[2:3], off
	s_sendmsg sendmsg(MSG_INTERRUPT)
.LBB5_856:                              ;   in Loop: Header=BB5_278 Depth=1
	s_or_b64 exec, exec, s[28:29]
	s_branch .LBB5_860
.LBB5_857:                              ;   in Loop: Header=BB5_860 Depth=2
	s_or_b64 exec, exec, s[28:29]
	v_readfirstlane_b32 s28, v0
	s_cmp_eq_u32 s28, 0
	s_cbranch_scc1 .LBB5_859
; %bb.858:                              ;   in Loop: Header=BB5_860 Depth=2
	s_sleep 1
	s_cbranch_execnz .LBB5_860
	s_branch .LBB5_862
.LBB5_859:                              ;   in Loop: Header=BB5_278 Depth=1
	s_branch .LBB5_862
.LBB5_860:                              ;   Parent Loop BB5_278 Depth=1
                                        ; =>  This Inner Loop Header: Depth=2
	v_mov_b32_e32 v0, 1
	s_and_saveexec_b64 s[28:29], s[4:5]
	s_cbranch_execz .LBB5_857
; %bb.861:                              ;   in Loop: Header=BB5_860 Depth=2
	global_load_dword v0, v[22:23], off offset:20 glc
	s_waitcnt vmcnt(0)
	buffer_invl2
	buffer_wbinvl1_vol
	v_and_b32_e32 v0, 1, v0
	s_branch .LBB5_857
.LBB5_862:                              ;   in Loop: Header=BB5_278 Depth=1
	s_and_saveexec_b64 s[28:29], s[4:5]
	s_cbranch_execz .LBB5_866
; %bb.863:                              ;   in Loop: Header=BB5_278 Depth=1
	global_load_dwordx2 v[0:1], v3, s[34:35] offset:40
	global_load_dwordx2 v[6:7], v3, s[34:35] offset:24 glc
	global_load_dwordx2 v[22:23], v3, s[34:35]
	v_mov_b32_e32 v2, s25
	s_waitcnt vmcnt(2)
	v_add_co_u32_e32 v5, vcc, 1, v0
	v_addc_co_u32_e32 v21, vcc, 0, v1, vcc
	v_add_co_u32_e32 v18, vcc, s24, v5
	v_addc_co_u32_e32 v19, vcc, v21, v2, vcc
	v_cmp_eq_u64_e32 vcc, 0, v[18:19]
	v_cndmask_b32_e32 v19, v19, v21, vcc
	v_cndmask_b32_e32 v18, v18, v5, vcc
	v_and_b32_e32 v1, v19, v1
	v_and_b32_e32 v0, v18, v0
	v_mul_lo_u32 v1, v1, 24
	v_mul_hi_u32 v2, v0, 24
	v_mul_lo_u32 v0, v0, 24
	v_add_u32_e32 v1, v2, v1
	s_waitcnt vmcnt(0)
	v_add_co_u32_e32 v0, vcc, v22, v0
	v_addc_co_u32_e32 v1, vcc, v23, v1, vcc
	v_mov_b32_e32 v20, v6
	global_store_dwordx2 v[0:1], v[6:7], off
	v_mov_b32_e32 v21, v7
	buffer_wbl2
	s_waitcnt vmcnt(0)
	global_atomic_cmpswap_x2 v[20:21], v3, v[18:21], s[34:35] offset:24 glc
	s_waitcnt vmcnt(0)
	v_cmp_ne_u64_e32 vcc, v[20:21], v[6:7]
	s_and_b64 exec, exec, vcc
	s_cbranch_execz .LBB5_866
; %bb.864:                              ;   in Loop: Header=BB5_278 Depth=1
	s_mov_b64 s[4:5], 0
.LBB5_865:                              ;   Parent Loop BB5_278 Depth=1
                                        ; =>  This Inner Loop Header: Depth=2
	s_sleep 1
	global_store_dwordx2 v[0:1], v[20:21], off
	buffer_wbl2
	s_waitcnt vmcnt(0)
	global_atomic_cmpswap_x2 v[6:7], v3, v[18:21], s[34:35] offset:24 glc
	s_waitcnt vmcnt(0)
	v_cmp_eq_u64_e32 vcc, v[6:7], v[20:21]
	s_or_b64 s[4:5], vcc, s[4:5]
	v_pk_mov_b32 v[20:21], v[6:7], v[6:7] op_sel:[0,1]
	s_andn2_b64 exec, exec, s[4:5]
	s_cbranch_execnz .LBB5_865
.LBB5_866:                              ;   in Loop: Header=BB5_278 Depth=1
	s_or_b64 exec, exec, s[28:29]
.LBB5_867:                              ;   in Loop: Header=BB5_278 Depth=1
	s_add_u32 s4, s46, s22
	s_addc_u32 s5, s47, s23
	global_load_dword v0, v3, s[4:5]
	s_waitcnt vmcnt(0)
	v_cmp_eq_u32_e32 vcc, -1, v0
	v_readfirstlane_b32 s61, v0
	s_cbranch_vccnz .LBB5_979
; %bb.868:                              ;   in Loop: Header=BB5_278 Depth=1
	v_readfirstlane_b32 s4, v51
	v_cmp_eq_u32_e64 s[4:5], s4, v51
	v_pk_mov_b32 v[0:1], 0, 0
	s_and_saveexec_b64 s[24:25], s[4:5]
	s_cbranch_execz .LBB5_874
; %bb.869:                              ;   in Loop: Header=BB5_278 Depth=1
	global_load_dwordx2 v[20:21], v3, s[34:35] offset:24 glc
	s_waitcnt vmcnt(0)
	buffer_invl2
	buffer_wbinvl1_vol
	global_load_dwordx2 v[0:1], v3, s[34:35] offset:40
	global_load_dwordx2 v[6:7], v3, s[34:35]
	s_waitcnt vmcnt(1)
	v_and_b32_e32 v0, v0, v20
	v_and_b32_e32 v1, v1, v21
	v_mul_lo_u32 v1, v1, 24
	v_mul_hi_u32 v2, v0, 24
	v_mul_lo_u32 v0, v0, 24
	v_add_u32_e32 v1, v2, v1
	s_waitcnt vmcnt(0)
	v_add_co_u32_e32 v0, vcc, v6, v0
	v_addc_co_u32_e32 v1, vcc, v7, v1, vcc
	global_load_dwordx2 v[18:19], v[0:1], off glc
	s_waitcnt vmcnt(0)
	global_atomic_cmpswap_x2 v[0:1], v3, v[18:21], s[34:35] offset:24 glc
	s_waitcnt vmcnt(0)
	buffer_invl2
	buffer_wbinvl1_vol
	v_cmp_ne_u64_e32 vcc, v[0:1], v[20:21]
	s_and_saveexec_b64 s[28:29], vcc
	s_cbranch_execz .LBB5_873
; %bb.870:                              ;   in Loop: Header=BB5_278 Depth=1
	s_mov_b64 s[30:31], 0
.LBB5_871:                              ;   Parent Loop BB5_278 Depth=1
                                        ; =>  This Inner Loop Header: Depth=2
	s_sleep 1
	global_load_dwordx2 v[6:7], v3, s[34:35] offset:40
	global_load_dwordx2 v[18:19], v3, s[34:35]
	v_pk_mov_b32 v[20:21], v[0:1], v[0:1] op_sel:[0,1]
	s_waitcnt vmcnt(1)
	v_and_b32_e32 v0, v6, v20
	s_waitcnt vmcnt(0)
	v_mad_u64_u32 v[0:1], s[52:53], v0, 24, v[18:19]
	v_and_b32_e32 v5, v7, v21
	v_mov_b32_e32 v2, v1
	v_mad_u64_u32 v[6:7], s[52:53], v5, 24, v[2:3]
	v_mov_b32_e32 v1, v6
	global_load_dwordx2 v[18:19], v[0:1], off glc
	s_waitcnt vmcnt(0)
	global_atomic_cmpswap_x2 v[0:1], v3, v[18:21], s[34:35] offset:24 glc
	s_waitcnt vmcnt(0)
	buffer_invl2
	buffer_wbinvl1_vol
	v_cmp_eq_u64_e32 vcc, v[0:1], v[20:21]
	s_or_b64 s[30:31], vcc, s[30:31]
	s_andn2_b64 exec, exec, s[30:31]
	s_cbranch_execnz .LBB5_871
; %bb.872:                              ;   in Loop: Header=BB5_278 Depth=1
	s_or_b64 exec, exec, s[30:31]
.LBB5_873:                              ;   in Loop: Header=BB5_278 Depth=1
	s_or_b64 exec, exec, s[28:29]
.LBB5_874:                              ;   in Loop: Header=BB5_278 Depth=1
	s_or_b64 exec, exec, s[24:25]
	global_load_dwordx2 v[6:7], v3, s[34:35] offset:40
	global_load_dwordx4 v[18:21], v3, s[34:35]
	v_readfirstlane_b32 s24, v0
	v_readfirstlane_b32 s25, v1
	s_mov_b64 s[28:29], exec
	s_waitcnt vmcnt(1)
	v_readfirstlane_b32 s30, v6
	v_readfirstlane_b32 s31, v7
	s_and_b64 s[30:31], s[24:25], s[30:31]
	s_mul_i32 s52, s31, 24
	s_mul_hi_u32 s53, s30, 24
	s_mul_i32 s54, s30, 24
	s_add_i32 s52, s53, s52
	v_mov_b32_e32 v1, s52
	s_waitcnt vmcnt(0)
	v_add_co_u32_e32 v0, vcc, s54, v18
	v_addc_co_u32_e32 v1, vcc, v19, v1, vcc
	s_and_saveexec_b64 s[52:53], s[4:5]
	s_cbranch_execz .LBB5_876
; %bb.875:                              ;   in Loop: Header=BB5_278 Depth=1
	v_pk_mov_b32 v[6:7], s[28:29], s[28:29] op_sel:[0,1]
	global_store_dwordx4 v[0:1], v[6:9], off offset:8
.LBB5_876:                              ;   in Loop: Header=BB5_278 Depth=1
	s_or_b64 exec, exec, s[52:53]
	s_lshl_b64 s[28:29], s[30:31], 12
	v_mov_b32_e32 v2, s29
	v_add_co_u32_e32 v22, vcc, s28, v20
	v_addc_co_u32_e32 v23, vcc, v21, v2, vcc
	v_pk_mov_b32 v[26:27], s[10:11], s[10:11] op_sel:[0,1]
	v_mov_b32_e32 v5, v3
	v_mov_b32_e32 v6, v3
	v_mov_b32_e32 v7, v3
	v_readfirstlane_b32 s28, v22
	v_readfirstlane_b32 s29, v23
	v_pk_mov_b32 v[24:25], s[8:9], s[8:9] op_sel:[0,1]
	s_nop 3
	global_store_dwordx4 v50, v[4:7], s[28:29]
	global_store_dwordx4 v50, v[24:27], s[28:29] offset:16
	global_store_dwordx4 v50, v[24:27], s[28:29] offset:32
	;; [unrolled: 1-line block ×3, first 2 shown]
	s_and_saveexec_b64 s[28:29], s[4:5]
	s_cbranch_execz .LBB5_884
; %bb.877:                              ;   in Loop: Header=BB5_278 Depth=1
	global_load_dwordx2 v[26:27], v3, s[34:35] offset:32 glc
	global_load_dwordx2 v[6:7], v3, s[34:35] offset:40
	v_mov_b32_e32 v24, s24
	v_mov_b32_e32 v25, s25
	s_waitcnt vmcnt(0)
	v_readfirstlane_b32 s30, v6
	v_readfirstlane_b32 s31, v7
	s_and_b64 s[30:31], s[30:31], s[24:25]
	s_mul_i32 s31, s31, 24
	s_mul_hi_u32 s52, s30, 24
	s_mul_i32 s30, s30, 24
	s_add_i32 s31, s52, s31
	v_mov_b32_e32 v2, s31
	v_add_co_u32_e32 v6, vcc, s30, v18
	v_addc_co_u32_e32 v7, vcc, v19, v2, vcc
	global_store_dwordx2 v[6:7], v[26:27], off
	buffer_wbl2
	s_waitcnt vmcnt(0)
	global_atomic_cmpswap_x2 v[20:21], v3, v[24:27], s[34:35] offset:32 glc
	s_waitcnt vmcnt(0)
	v_cmp_ne_u64_e32 vcc, v[20:21], v[26:27]
	s_and_saveexec_b64 s[30:31], vcc
	s_cbranch_execz .LBB5_880
; %bb.878:                              ;   in Loop: Header=BB5_278 Depth=1
	s_mov_b64 s[52:53], 0
.LBB5_879:                              ;   Parent Loop BB5_278 Depth=1
                                        ; =>  This Inner Loop Header: Depth=2
	s_sleep 1
	global_store_dwordx2 v[6:7], v[20:21], off
	v_mov_b32_e32 v18, s24
	v_mov_b32_e32 v19, s25
	buffer_wbl2
	s_waitcnt vmcnt(0)
	global_atomic_cmpswap_x2 v[18:19], v3, v[18:21], s[34:35] offset:32 glc
	s_waitcnt vmcnt(0)
	v_cmp_eq_u64_e32 vcc, v[18:19], v[20:21]
	s_or_b64 s[52:53], vcc, s[52:53]
	v_pk_mov_b32 v[20:21], v[18:19], v[18:19] op_sel:[0,1]
	s_andn2_b64 exec, exec, s[52:53]
	s_cbranch_execnz .LBB5_879
.LBB5_880:                              ;   in Loop: Header=BB5_278 Depth=1
	s_or_b64 exec, exec, s[30:31]
	global_load_dwordx2 v[6:7], v3, s[34:35] offset:16
	s_mov_b64 s[52:53], exec
	v_mbcnt_lo_u32_b32 v2, s52, 0
	v_mbcnt_hi_u32_b32 v2, s53, v2
	v_cmp_eq_u32_e32 vcc, 0, v2
	s_and_saveexec_b64 s[30:31], vcc
	s_cbranch_execz .LBB5_882
; %bb.881:                              ;   in Loop: Header=BB5_278 Depth=1
	s_bcnt1_i32_b64 s52, s[52:53]
	v_mov_b32_e32 v2, s52
	buffer_wbl2
	s_waitcnt vmcnt(0)
	global_atomic_add_x2 v[6:7], v[2:3], off offset:8
.LBB5_882:                              ;   in Loop: Header=BB5_278 Depth=1
	s_or_b64 exec, exec, s[30:31]
	s_waitcnt vmcnt(0)
	global_load_dwordx2 v[18:19], v[6:7], off offset:16
	s_waitcnt vmcnt(0)
	v_cmp_eq_u64_e32 vcc, 0, v[18:19]
	s_cbranch_vccnz .LBB5_884
; %bb.883:                              ;   in Loop: Header=BB5_278 Depth=1
	global_load_dword v2, v[6:7], off offset:24
	buffer_wbl2
	s_waitcnt vmcnt(0)
	global_store_dwordx2 v[18:19], v[2:3], off
	v_and_b32_e32 v2, 0xffffff, v2
	v_readfirstlane_b32 m0, v2
	s_sendmsg sendmsg(MSG_INTERRUPT)
.LBB5_884:                              ;   in Loop: Header=BB5_278 Depth=1
	s_or_b64 exec, exec, s[28:29]
	v_add_co_u32_e32 v6, vcc, v22, v50
	v_addc_co_u32_e32 v7, vcc, 0, v23, vcc
	s_branch .LBB5_888
.LBB5_885:                              ;   in Loop: Header=BB5_888 Depth=2
	s_or_b64 exec, exec, s[28:29]
	v_readfirstlane_b32 s28, v2
	s_cmp_eq_u32 s28, 0
	s_cbranch_scc1 .LBB5_887
; %bb.886:                              ;   in Loop: Header=BB5_888 Depth=2
	s_sleep 1
	s_cbranch_execnz .LBB5_888
	s_branch .LBB5_890
.LBB5_887:                              ;   in Loop: Header=BB5_278 Depth=1
	s_branch .LBB5_890
.LBB5_888:                              ;   Parent Loop BB5_278 Depth=1
                                        ; =>  This Inner Loop Header: Depth=2
	v_mov_b32_e32 v2, 1
	s_and_saveexec_b64 s[28:29], s[4:5]
	s_cbranch_execz .LBB5_885
; %bb.889:                              ;   in Loop: Header=BB5_888 Depth=2
	global_load_dword v2, v[0:1], off offset:20 glc
	s_waitcnt vmcnt(0)
	buffer_invl2
	buffer_wbinvl1_vol
	v_and_b32_e32 v2, 1, v2
	s_branch .LBB5_885
.LBB5_890:                              ;   in Loop: Header=BB5_278 Depth=1
	global_load_dwordx2 v[0:1], v[6:7], off
	s_and_saveexec_b64 s[28:29], s[4:5]
	s_cbranch_execz .LBB5_894
; %bb.891:                              ;   in Loop: Header=BB5_278 Depth=1
	global_load_dwordx2 v[6:7], v3, s[34:35] offset:40
	global_load_dwordx2 v[22:23], v3, s[34:35] offset:24 glc
	global_load_dwordx2 v[24:25], v3, s[34:35]
	v_mov_b32_e32 v2, s25
	s_waitcnt vmcnt(2)
	v_add_co_u32_e32 v5, vcc, 1, v6
	v_addc_co_u32_e32 v21, vcc, 0, v7, vcc
	v_add_co_u32_e32 v18, vcc, s24, v5
	v_addc_co_u32_e32 v19, vcc, v21, v2, vcc
	v_cmp_eq_u64_e32 vcc, 0, v[18:19]
	v_cndmask_b32_e32 v19, v19, v21, vcc
	v_cndmask_b32_e32 v18, v18, v5, vcc
	v_and_b32_e32 v2, v19, v7
	v_and_b32_e32 v5, v18, v6
	v_mul_lo_u32 v2, v2, 24
	v_mul_hi_u32 v6, v5, 24
	v_mul_lo_u32 v5, v5, 24
	v_add_u32_e32 v2, v6, v2
	s_waitcnt vmcnt(0)
	v_add_co_u32_e32 v6, vcc, v24, v5
	v_addc_co_u32_e32 v7, vcc, v25, v2, vcc
	v_mov_b32_e32 v20, v22
	global_store_dwordx2 v[6:7], v[22:23], off
	v_mov_b32_e32 v21, v23
	buffer_wbl2
	s_waitcnt vmcnt(0)
	global_atomic_cmpswap_x2 v[20:21], v3, v[18:21], s[34:35] offset:24 glc
	s_waitcnt vmcnt(0)
	v_cmp_ne_u64_e32 vcc, v[20:21], v[22:23]
	s_and_b64 exec, exec, vcc
	s_cbranch_execz .LBB5_894
; %bb.892:                              ;   in Loop: Header=BB5_278 Depth=1
	s_mov_b64 s[4:5], 0
.LBB5_893:                              ;   Parent Loop BB5_278 Depth=1
                                        ; =>  This Inner Loop Header: Depth=2
	s_sleep 1
	global_store_dwordx2 v[6:7], v[20:21], off
	buffer_wbl2
	s_waitcnt vmcnt(0)
	global_atomic_cmpswap_x2 v[22:23], v3, v[18:21], s[34:35] offset:24 glc
	s_waitcnt vmcnt(0)
	v_cmp_eq_u64_e32 vcc, v[22:23], v[20:21]
	s_or_b64 s[4:5], vcc, s[4:5]
	v_pk_mov_b32 v[20:21], v[22:23], v[22:23] op_sel:[0,1]
	s_andn2_b64 exec, exec, s[4:5]
	s_cbranch_execnz .LBB5_893
.LBB5_894:                              ;   in Loop: Header=BB5_278 Depth=1
	s_or_b64 exec, exec, s[28:29]
	s_and_b64 vcc, exec, s[12:13]
	s_cbranch_vccz .LBB5_980
; %bb.895:                              ;   in Loop: Header=BB5_278 Depth=1
	s_waitcnt vmcnt(0)
	v_and_b32_e32 v38, 2, v0
	v_and_b32_e32 v18, -3, v0
	v_mov_b32_e32 v19, v1
	s_mov_b64 s[28:29], 6
	s_getpc_b64 s[24:25]
	s_add_u32 s24, s24, .str.3@rel32@lo+4
	s_addc_u32 s25, s25, .str.3@rel32@hi+12
	s_branch .LBB5_897
.LBB5_896:                              ;   in Loop: Header=BB5_897 Depth=2
	s_or_b64 exec, exec, s[54:55]
	s_sub_u32 s28, s28, s30
	s_subb_u32 s29, s29, s31
	s_add_u32 s24, s24, s30
	s_addc_u32 s25, s25, s31
	s_cmp_lg_u64 s[28:29], 0
	s_cbranch_scc0 .LBB5_978
.LBB5_897:                              ;   Parent Loop BB5_278 Depth=1
                                        ; =>  This Loop Header: Depth=2
                                        ;       Child Loop BB5_900 Depth 3
                                        ;       Child Loop BB5_907 Depth 3
	;; [unrolled: 1-line block ×11, first 2 shown]
	v_cmp_lt_u64_e64 s[4:5], s[28:29], 56
	s_and_b64 s[4:5], s[4:5], exec
	v_cmp_gt_u64_e64 s[4:5], s[28:29], 7
	s_cselect_b32 s31, s29, 0
	s_cselect_b32 s30, s28, 56
	s_and_b64 vcc, exec, s[4:5]
	s_cbranch_vccnz .LBB5_902
; %bb.898:                              ;   in Loop: Header=BB5_897 Depth=2
	s_mov_b64 s[4:5], 0
	s_cmp_eq_u64 s[28:29], 0
	s_waitcnt vmcnt(0)
	v_pk_mov_b32 v[20:21], 0, 0
	s_cbranch_scc1 .LBB5_901
; %bb.899:                              ;   in Loop: Header=BB5_897 Depth=2
	s_lshl_b64 s[52:53], s[30:31], 3
	s_mov_b64 s[54:55], 0
	v_pk_mov_b32 v[20:21], 0, 0
	s_mov_b64 s[56:57], s[24:25]
.LBB5_900:                              ;   Parent Loop BB5_278 Depth=1
                                        ;     Parent Loop BB5_897 Depth=2
                                        ; =>    This Inner Loop Header: Depth=3
	global_load_ubyte v2, v3, s[56:57]
	s_waitcnt vmcnt(0)
	v_and_b32_e32 v2, 0xffff, v2
	v_lshlrev_b64 v[6:7], s54, v[2:3]
	s_add_u32 s54, s54, 8
	s_addc_u32 s55, s55, 0
	s_add_u32 s56, s56, 1
	s_addc_u32 s57, s57, 0
	v_or_b32_e32 v20, v6, v20
	s_cmp_lg_u32 s52, s54
	v_or_b32_e32 v21, v7, v21
	s_cbranch_scc1 .LBB5_900
.LBB5_901:                              ;   in Loop: Header=BB5_897 Depth=2
	s_mov_b32 s56, 0
	s_andn2_b64 vcc, exec, s[4:5]
	s_mov_b64 s[4:5], s[24:25]
	s_cbranch_vccz .LBB5_903
	s_branch .LBB5_904
.LBB5_902:                              ;   in Loop: Header=BB5_897 Depth=2
                                        ; implicit-def: $vgpr20_vgpr21
                                        ; implicit-def: $sgpr56
	s_mov_b64 s[4:5], s[24:25]
.LBB5_903:                              ;   in Loop: Header=BB5_897 Depth=2
	global_load_dwordx2 v[20:21], v3, s[24:25]
	s_add_i32 s56, s30, -8
	s_add_u32 s4, s24, 8
	s_addc_u32 s5, s25, 0
.LBB5_904:                              ;   in Loop: Header=BB5_897 Depth=2
	s_cmp_gt_u32 s56, 7
	s_cbranch_scc1 .LBB5_908
; %bb.905:                              ;   in Loop: Header=BB5_897 Depth=2
	s_cmp_eq_u32 s56, 0
	s_cbranch_scc1 .LBB5_909
; %bb.906:                              ;   in Loop: Header=BB5_897 Depth=2
	s_mov_b64 s[52:53], 0
	v_pk_mov_b32 v[22:23], 0, 0
	s_mov_b64 s[54:55], 0
.LBB5_907:                              ;   Parent Loop BB5_278 Depth=1
                                        ;     Parent Loop BB5_897 Depth=2
                                        ; =>    This Inner Loop Header: Depth=3
	s_add_u32 s58, s4, s54
	s_addc_u32 s59, s5, s55
	global_load_ubyte v2, v3, s[58:59]
	s_add_u32 s54, s54, 1
	s_addc_u32 s55, s55, 0
	s_waitcnt vmcnt(0)
	v_and_b32_e32 v2, 0xffff, v2
	v_lshlrev_b64 v[6:7], s52, v[2:3]
	s_add_u32 s52, s52, 8
	s_addc_u32 s53, s53, 0
	v_or_b32_e32 v22, v6, v22
	s_cmp_lg_u32 s56, s54
	v_or_b32_e32 v23, v7, v23
	s_cbranch_scc1 .LBB5_907
	s_branch .LBB5_910
.LBB5_908:                              ;   in Loop: Header=BB5_897 Depth=2
                                        ; implicit-def: $vgpr22_vgpr23
                                        ; implicit-def: $sgpr57
	s_branch .LBB5_911
.LBB5_909:                              ;   in Loop: Header=BB5_897 Depth=2
	v_pk_mov_b32 v[22:23], 0, 0
.LBB5_910:                              ;   in Loop: Header=BB5_897 Depth=2
	s_mov_b32 s57, 0
	s_cbranch_execnz .LBB5_912
.LBB5_911:                              ;   in Loop: Header=BB5_897 Depth=2
	global_load_dwordx2 v[22:23], v3, s[4:5]
	s_add_i32 s57, s56, -8
	s_add_u32 s4, s4, 8
	s_addc_u32 s5, s5, 0
.LBB5_912:                              ;   in Loop: Header=BB5_897 Depth=2
	s_cmp_gt_u32 s57, 7
	s_cbranch_scc1 .LBB5_916
; %bb.913:                              ;   in Loop: Header=BB5_897 Depth=2
	s_cmp_eq_u32 s57, 0
	s_cbranch_scc1 .LBB5_917
; %bb.914:                              ;   in Loop: Header=BB5_897 Depth=2
	s_mov_b64 s[52:53], 0
	v_pk_mov_b32 v[24:25], 0, 0
	s_mov_b64 s[54:55], 0
.LBB5_915:                              ;   Parent Loop BB5_278 Depth=1
                                        ;     Parent Loop BB5_897 Depth=2
                                        ; =>    This Inner Loop Header: Depth=3
	s_add_u32 s58, s4, s54
	s_addc_u32 s59, s5, s55
	global_load_ubyte v2, v3, s[58:59]
	s_add_u32 s54, s54, 1
	s_addc_u32 s55, s55, 0
	s_waitcnt vmcnt(0)
	v_and_b32_e32 v2, 0xffff, v2
	v_lshlrev_b64 v[6:7], s52, v[2:3]
	s_add_u32 s52, s52, 8
	s_addc_u32 s53, s53, 0
	v_or_b32_e32 v24, v6, v24
	s_cmp_lg_u32 s57, s54
	v_or_b32_e32 v25, v7, v25
	s_cbranch_scc1 .LBB5_915
	s_branch .LBB5_918
.LBB5_916:                              ;   in Loop: Header=BB5_897 Depth=2
                                        ; implicit-def: $sgpr56
	s_branch .LBB5_919
.LBB5_917:                              ;   in Loop: Header=BB5_897 Depth=2
	v_pk_mov_b32 v[24:25], 0, 0
.LBB5_918:                              ;   in Loop: Header=BB5_897 Depth=2
	s_mov_b32 s56, 0
	s_cbranch_execnz .LBB5_920
.LBB5_919:                              ;   in Loop: Header=BB5_897 Depth=2
	global_load_dwordx2 v[24:25], v3, s[4:5]
	s_add_i32 s56, s57, -8
	s_add_u32 s4, s4, 8
	s_addc_u32 s5, s5, 0
.LBB5_920:                              ;   in Loop: Header=BB5_897 Depth=2
	s_cmp_gt_u32 s56, 7
	s_cbranch_scc1 .LBB5_924
; %bb.921:                              ;   in Loop: Header=BB5_897 Depth=2
	s_cmp_eq_u32 s56, 0
	s_cbranch_scc1 .LBB5_925
; %bb.922:                              ;   in Loop: Header=BB5_897 Depth=2
	s_mov_b64 s[52:53], 0
	v_pk_mov_b32 v[26:27], 0, 0
	s_mov_b64 s[54:55], 0
.LBB5_923:                              ;   Parent Loop BB5_278 Depth=1
                                        ;     Parent Loop BB5_897 Depth=2
                                        ; =>    This Inner Loop Header: Depth=3
	s_add_u32 s58, s4, s54
	s_addc_u32 s59, s5, s55
	global_load_ubyte v2, v3, s[58:59]
	s_add_u32 s54, s54, 1
	s_addc_u32 s55, s55, 0
	s_waitcnt vmcnt(0)
	v_and_b32_e32 v2, 0xffff, v2
	v_lshlrev_b64 v[6:7], s52, v[2:3]
	s_add_u32 s52, s52, 8
	s_addc_u32 s53, s53, 0
	v_or_b32_e32 v26, v6, v26
	s_cmp_lg_u32 s56, s54
	v_or_b32_e32 v27, v7, v27
	s_cbranch_scc1 .LBB5_923
	s_branch .LBB5_926
.LBB5_924:                              ;   in Loop: Header=BB5_897 Depth=2
                                        ; implicit-def: $vgpr26_vgpr27
                                        ; implicit-def: $sgpr57
	s_branch .LBB5_927
.LBB5_925:                              ;   in Loop: Header=BB5_897 Depth=2
	v_pk_mov_b32 v[26:27], 0, 0
.LBB5_926:                              ;   in Loop: Header=BB5_897 Depth=2
	s_mov_b32 s57, 0
	s_cbranch_execnz .LBB5_928
.LBB5_927:                              ;   in Loop: Header=BB5_897 Depth=2
	global_load_dwordx2 v[26:27], v3, s[4:5]
	s_add_i32 s57, s56, -8
	s_add_u32 s4, s4, 8
	s_addc_u32 s5, s5, 0
.LBB5_928:                              ;   in Loop: Header=BB5_897 Depth=2
	s_cmp_gt_u32 s57, 7
	s_cbranch_scc1 .LBB5_932
; %bb.929:                              ;   in Loop: Header=BB5_897 Depth=2
	s_cmp_eq_u32 s57, 0
	s_cbranch_scc1 .LBB5_933
; %bb.930:                              ;   in Loop: Header=BB5_897 Depth=2
	s_mov_b64 s[52:53], 0
	v_pk_mov_b32 v[28:29], 0, 0
	s_mov_b64 s[54:55], 0
.LBB5_931:                              ;   Parent Loop BB5_278 Depth=1
                                        ;     Parent Loop BB5_897 Depth=2
                                        ; =>    This Inner Loop Header: Depth=3
	s_add_u32 s58, s4, s54
	s_addc_u32 s59, s5, s55
	global_load_ubyte v2, v3, s[58:59]
	s_add_u32 s54, s54, 1
	s_addc_u32 s55, s55, 0
	s_waitcnt vmcnt(0)
	v_and_b32_e32 v2, 0xffff, v2
	v_lshlrev_b64 v[6:7], s52, v[2:3]
	s_add_u32 s52, s52, 8
	s_addc_u32 s53, s53, 0
	v_or_b32_e32 v28, v6, v28
	s_cmp_lg_u32 s57, s54
	v_or_b32_e32 v29, v7, v29
	s_cbranch_scc1 .LBB5_931
	s_branch .LBB5_934
.LBB5_932:                              ;   in Loop: Header=BB5_897 Depth=2
                                        ; implicit-def: $sgpr56
	s_branch .LBB5_935
.LBB5_933:                              ;   in Loop: Header=BB5_897 Depth=2
	v_pk_mov_b32 v[28:29], 0, 0
.LBB5_934:                              ;   in Loop: Header=BB5_897 Depth=2
	s_mov_b32 s56, 0
	s_cbranch_execnz .LBB5_936
.LBB5_935:                              ;   in Loop: Header=BB5_897 Depth=2
	global_load_dwordx2 v[28:29], v3, s[4:5]
	s_add_i32 s56, s57, -8
	s_add_u32 s4, s4, 8
	s_addc_u32 s5, s5, 0
.LBB5_936:                              ;   in Loop: Header=BB5_897 Depth=2
	s_cmp_gt_u32 s56, 7
	s_cbranch_scc1 .LBB5_940
; %bb.937:                              ;   in Loop: Header=BB5_897 Depth=2
	s_cmp_eq_u32 s56, 0
	s_cbranch_scc1 .LBB5_941
; %bb.938:                              ;   in Loop: Header=BB5_897 Depth=2
	s_mov_b64 s[52:53], 0
	v_pk_mov_b32 v[30:31], 0, 0
	s_mov_b64 s[54:55], 0
.LBB5_939:                              ;   Parent Loop BB5_278 Depth=1
                                        ;     Parent Loop BB5_897 Depth=2
                                        ; =>    This Inner Loop Header: Depth=3
	s_add_u32 s58, s4, s54
	s_addc_u32 s59, s5, s55
	global_load_ubyte v2, v3, s[58:59]
	s_add_u32 s54, s54, 1
	s_addc_u32 s55, s55, 0
	s_waitcnt vmcnt(0)
	v_and_b32_e32 v2, 0xffff, v2
	v_lshlrev_b64 v[6:7], s52, v[2:3]
	s_add_u32 s52, s52, 8
	s_addc_u32 s53, s53, 0
	v_or_b32_e32 v30, v6, v30
	s_cmp_lg_u32 s56, s54
	v_or_b32_e32 v31, v7, v31
	s_cbranch_scc1 .LBB5_939
	s_branch .LBB5_942
.LBB5_940:                              ;   in Loop: Header=BB5_897 Depth=2
                                        ; implicit-def: $vgpr30_vgpr31
                                        ; implicit-def: $sgpr57
	s_branch .LBB5_943
.LBB5_941:                              ;   in Loop: Header=BB5_897 Depth=2
	v_pk_mov_b32 v[30:31], 0, 0
.LBB5_942:                              ;   in Loop: Header=BB5_897 Depth=2
	s_mov_b32 s57, 0
	s_cbranch_execnz .LBB5_944
.LBB5_943:                              ;   in Loop: Header=BB5_897 Depth=2
	global_load_dwordx2 v[30:31], v3, s[4:5]
	s_add_i32 s57, s56, -8
	s_add_u32 s4, s4, 8
	s_addc_u32 s5, s5, 0
.LBB5_944:                              ;   in Loop: Header=BB5_897 Depth=2
	s_cmp_gt_u32 s57, 7
	s_cbranch_scc1 .LBB5_948
; %bb.945:                              ;   in Loop: Header=BB5_897 Depth=2
	s_cmp_eq_u32 s57, 0
	s_cbranch_scc1 .LBB5_949
; %bb.946:                              ;   in Loop: Header=BB5_897 Depth=2
	s_mov_b64 s[52:53], 0
	v_pk_mov_b32 v[32:33], 0, 0
	s_mov_b64 s[54:55], s[4:5]
.LBB5_947:                              ;   Parent Loop BB5_278 Depth=1
                                        ;     Parent Loop BB5_897 Depth=2
                                        ; =>    This Inner Loop Header: Depth=3
	global_load_ubyte v2, v3, s[54:55]
	s_add_i32 s57, s57, -1
	s_waitcnt vmcnt(0)
	v_and_b32_e32 v2, 0xffff, v2
	v_lshlrev_b64 v[6:7], s52, v[2:3]
	s_add_u32 s52, s52, 8
	s_addc_u32 s53, s53, 0
	s_add_u32 s54, s54, 1
	s_addc_u32 s55, s55, 0
	v_or_b32_e32 v32, v6, v32
	s_cmp_lg_u32 s57, 0
	v_or_b32_e32 v33, v7, v33
	s_cbranch_scc1 .LBB5_947
	s_branch .LBB5_950
.LBB5_948:                              ;   in Loop: Header=BB5_897 Depth=2
	s_branch .LBB5_951
.LBB5_949:                              ;   in Loop: Header=BB5_897 Depth=2
	v_pk_mov_b32 v[32:33], 0, 0
.LBB5_950:                              ;   in Loop: Header=BB5_897 Depth=2
	s_cbranch_execnz .LBB5_952
.LBB5_951:                              ;   in Loop: Header=BB5_897 Depth=2
	global_load_dwordx2 v[32:33], v3, s[4:5]
.LBB5_952:                              ;   in Loop: Header=BB5_897 Depth=2
	v_readfirstlane_b32 s4, v51
	v_cmp_eq_u32_e64 s[4:5], s4, v51
	v_pk_mov_b32 v[6:7], 0, 0
	s_and_saveexec_b64 s[52:53], s[4:5]
	s_cbranch_execz .LBB5_958
; %bb.953:                              ;   in Loop: Header=BB5_897 Depth=2
	global_load_dwordx2 v[36:37], v3, s[34:35] offset:24 glc
	s_waitcnt vmcnt(0)
	buffer_invl2
	buffer_wbinvl1_vol
	global_load_dwordx2 v[6:7], v3, s[34:35] offset:40
	global_load_dwordx2 v[34:35], v3, s[34:35]
	s_waitcnt vmcnt(1)
	v_and_b32_e32 v2, v6, v36
	v_and_b32_e32 v5, v7, v37
	v_mul_lo_u32 v5, v5, 24
	v_mul_hi_u32 v6, v2, 24
	v_mul_lo_u32 v2, v2, 24
	v_add_u32_e32 v5, v6, v5
	s_waitcnt vmcnt(0)
	v_add_co_u32_e32 v6, vcc, v34, v2
	v_addc_co_u32_e32 v7, vcc, v35, v5, vcc
	global_load_dwordx2 v[34:35], v[6:7], off glc
	s_waitcnt vmcnt(0)
	global_atomic_cmpswap_x2 v[6:7], v3, v[34:37], s[34:35] offset:24 glc
	s_waitcnt vmcnt(0)
	buffer_invl2
	buffer_wbinvl1_vol
	v_cmp_ne_u64_e32 vcc, v[6:7], v[36:37]
	s_and_saveexec_b64 s[54:55], vcc
	s_cbranch_execz .LBB5_957
; %bb.954:                              ;   in Loop: Header=BB5_897 Depth=2
	s_mov_b64 s[56:57], 0
.LBB5_955:                              ;   Parent Loop BB5_278 Depth=1
                                        ;     Parent Loop BB5_897 Depth=2
                                        ; =>    This Inner Loop Header: Depth=3
	s_sleep 1
	global_load_dwordx2 v[34:35], v3, s[34:35] offset:40
	global_load_dwordx2 v[40:41], v3, s[34:35]
	v_pk_mov_b32 v[36:37], v[6:7], v[6:7] op_sel:[0,1]
	s_waitcnt vmcnt(1)
	v_and_b32_e32 v2, v34, v36
	s_waitcnt vmcnt(0)
	v_mad_u64_u32 v[6:7], s[58:59], v2, 24, v[40:41]
	v_and_b32_e32 v5, v35, v37
	v_mov_b32_e32 v2, v7
	v_mad_u64_u32 v[34:35], s[58:59], v5, 24, v[2:3]
	v_mov_b32_e32 v7, v34
	global_load_dwordx2 v[34:35], v[6:7], off glc
	s_waitcnt vmcnt(0)
	global_atomic_cmpswap_x2 v[6:7], v3, v[34:37], s[34:35] offset:24 glc
	s_waitcnt vmcnt(0)
	buffer_invl2
	buffer_wbinvl1_vol
	v_cmp_eq_u64_e32 vcc, v[6:7], v[36:37]
	s_or_b64 s[56:57], vcc, s[56:57]
	s_andn2_b64 exec, exec, s[56:57]
	s_cbranch_execnz .LBB5_955
; %bb.956:                              ;   in Loop: Header=BB5_897 Depth=2
	s_or_b64 exec, exec, s[56:57]
.LBB5_957:                              ;   in Loop: Header=BB5_897 Depth=2
	s_or_b64 exec, exec, s[54:55]
.LBB5_958:                              ;   in Loop: Header=BB5_897 Depth=2
	s_or_b64 exec, exec, s[52:53]
	global_load_dwordx2 v[40:41], v3, s[34:35] offset:40
	global_load_dwordx4 v[34:37], v3, s[34:35]
	v_readfirstlane_b32 s52, v6
	v_readfirstlane_b32 s53, v7
	s_mov_b64 s[54:55], exec
	s_waitcnt vmcnt(1)
	v_readfirstlane_b32 s56, v40
	v_readfirstlane_b32 s57, v41
	s_and_b64 s[56:57], s[52:53], s[56:57]
	s_mul_i32 s58, s57, 24
	s_mul_hi_u32 s59, s56, 24
	s_mul_i32 s62, s56, 24
	s_add_i32 s58, s59, s58
	v_mov_b32_e32 v2, s58
	s_waitcnt vmcnt(0)
	v_add_co_u32_e32 v40, vcc, s62, v34
	v_addc_co_u32_e32 v41, vcc, v35, v2, vcc
	s_and_saveexec_b64 s[58:59], s[4:5]
	s_cbranch_execz .LBB5_960
; %bb.959:                              ;   in Loop: Header=BB5_897 Depth=2
	v_pk_mov_b32 v[6:7], s[54:55], s[54:55] op_sel:[0,1]
	global_store_dwordx4 v[40:41], v[6:9], off offset:8
.LBB5_960:                              ;   in Loop: Header=BB5_897 Depth=2
	s_or_b64 exec, exec, s[58:59]
	s_lshl_b64 s[54:55], s[56:57], 12
	v_mov_b32_e32 v2, s55
	v_add_co_u32_e32 v6, vcc, s54, v36
	v_addc_co_u32_e32 v5, vcc, v37, v2, vcc
	v_or_b32_e32 v2, 0, v19
	v_or_b32_e32 v7, v18, v38
	v_cmp_gt_u64_e64 vcc, s[28:29], 56
	s_lshl_b32 s54, s30, 2
	v_cndmask_b32_e32 v19, v2, v19, vcc
	v_cndmask_b32_e32 v2, v7, v18, vcc
	s_add_i32 s54, s54, 28
	s_and_b32 s54, s54, 0x1e0
	v_and_b32_e32 v2, 0xffffff1f, v2
	v_or_b32_e32 v18, s54, v2
	v_readfirstlane_b32 s54, v6
	v_readfirstlane_b32 s55, v5
	s_nop 4
	global_store_dwordx4 v50, v[18:21], s[54:55]
	global_store_dwordx4 v50, v[22:25], s[54:55] offset:16
	global_store_dwordx4 v50, v[26:29], s[54:55] offset:32
	;; [unrolled: 1-line block ×3, first 2 shown]
	s_and_saveexec_b64 s[54:55], s[4:5]
	s_cbranch_execz .LBB5_968
; %bb.961:                              ;   in Loop: Header=BB5_897 Depth=2
	global_load_dwordx2 v[26:27], v3, s[34:35] offset:32 glc
	global_load_dwordx2 v[18:19], v3, s[34:35] offset:40
	v_mov_b32_e32 v24, s52
	v_mov_b32_e32 v25, s53
	s_waitcnt vmcnt(0)
	v_readfirstlane_b32 s56, v18
	v_readfirstlane_b32 s57, v19
	s_and_b64 s[56:57], s[56:57], s[52:53]
	s_mul_i32 s57, s57, 24
	s_mul_hi_u32 s58, s56, 24
	s_mul_i32 s56, s56, 24
	s_add_i32 s57, s58, s57
	v_mov_b32_e32 v2, s57
	v_add_co_u32_e32 v22, vcc, s56, v34
	v_addc_co_u32_e32 v23, vcc, v35, v2, vcc
	global_store_dwordx2 v[22:23], v[26:27], off
	buffer_wbl2
	s_waitcnt vmcnt(0)
	global_atomic_cmpswap_x2 v[20:21], v3, v[24:27], s[34:35] offset:32 glc
	s_waitcnt vmcnt(0)
	v_cmp_ne_u64_e32 vcc, v[20:21], v[26:27]
	s_and_saveexec_b64 s[56:57], vcc
	s_cbranch_execz .LBB5_964
; %bb.962:                              ;   in Loop: Header=BB5_897 Depth=2
	s_mov_b64 s[58:59], 0
.LBB5_963:                              ;   Parent Loop BB5_278 Depth=1
                                        ;     Parent Loop BB5_897 Depth=2
                                        ; =>    This Inner Loop Header: Depth=3
	s_sleep 1
	global_store_dwordx2 v[22:23], v[20:21], off
	v_mov_b32_e32 v18, s52
	v_mov_b32_e32 v19, s53
	buffer_wbl2
	s_waitcnt vmcnt(0)
	global_atomic_cmpswap_x2 v[18:19], v3, v[18:21], s[34:35] offset:32 glc
	s_waitcnt vmcnt(0)
	v_cmp_eq_u64_e32 vcc, v[18:19], v[20:21]
	s_or_b64 s[58:59], vcc, s[58:59]
	v_pk_mov_b32 v[20:21], v[18:19], v[18:19] op_sel:[0,1]
	s_andn2_b64 exec, exec, s[58:59]
	s_cbranch_execnz .LBB5_963
.LBB5_964:                              ;   in Loop: Header=BB5_897 Depth=2
	s_or_b64 exec, exec, s[56:57]
	global_load_dwordx2 v[18:19], v3, s[34:35] offset:16
	s_mov_b64 s[58:59], exec
	v_mbcnt_lo_u32_b32 v2, s58, 0
	v_mbcnt_hi_u32_b32 v2, s59, v2
	v_cmp_eq_u32_e32 vcc, 0, v2
	s_and_saveexec_b64 s[56:57], vcc
	s_cbranch_execz .LBB5_966
; %bb.965:                              ;   in Loop: Header=BB5_897 Depth=2
	s_bcnt1_i32_b64 s58, s[58:59]
	v_mov_b32_e32 v2, s58
	buffer_wbl2
	s_waitcnt vmcnt(0)
	global_atomic_add_x2 v[18:19], v[2:3], off offset:8
.LBB5_966:                              ;   in Loop: Header=BB5_897 Depth=2
	s_or_b64 exec, exec, s[56:57]
	s_waitcnt vmcnt(0)
	global_load_dwordx2 v[20:21], v[18:19], off offset:16
	s_waitcnt vmcnt(0)
	v_cmp_eq_u64_e32 vcc, 0, v[20:21]
	s_cbranch_vccnz .LBB5_968
; %bb.967:                              ;   in Loop: Header=BB5_897 Depth=2
	global_load_dword v2, v[18:19], off offset:24
	buffer_wbl2
	s_waitcnt vmcnt(0)
	global_store_dwordx2 v[20:21], v[2:3], off
	v_and_b32_e32 v2, 0xffffff, v2
	v_readfirstlane_b32 m0, v2
	s_sendmsg sendmsg(MSG_INTERRUPT)
.LBB5_968:                              ;   in Loop: Header=BB5_897 Depth=2
	s_or_b64 exec, exec, s[54:55]
	v_add_co_u32_e32 v6, vcc, v6, v50
	v_addc_co_u32_e32 v7, vcc, 0, v5, vcc
	s_branch .LBB5_972
.LBB5_969:                              ;   in Loop: Header=BB5_972 Depth=3
	s_or_b64 exec, exec, s[54:55]
	v_readfirstlane_b32 s54, v2
	s_cmp_eq_u32 s54, 0
	s_cbranch_scc1 .LBB5_971
; %bb.970:                              ;   in Loop: Header=BB5_972 Depth=3
	s_sleep 1
	s_cbranch_execnz .LBB5_972
	s_branch .LBB5_974
.LBB5_971:                              ;   in Loop: Header=BB5_897 Depth=2
	s_branch .LBB5_974
.LBB5_972:                              ;   Parent Loop BB5_278 Depth=1
                                        ;     Parent Loop BB5_897 Depth=2
                                        ; =>    This Inner Loop Header: Depth=3
	v_mov_b32_e32 v2, 1
	s_and_saveexec_b64 s[54:55], s[4:5]
	s_cbranch_execz .LBB5_969
; %bb.973:                              ;   in Loop: Header=BB5_972 Depth=3
	global_load_dword v2, v[40:41], off offset:20 glc
	s_waitcnt vmcnt(0)
	buffer_invl2
	buffer_wbinvl1_vol
	v_and_b32_e32 v2, 1, v2
	s_branch .LBB5_969
.LBB5_974:                              ;   in Loop: Header=BB5_897 Depth=2
	global_load_dwordx4 v[18:21], v[6:7], off
	s_and_saveexec_b64 s[54:55], s[4:5]
	s_cbranch_execz .LBB5_896
; %bb.975:                              ;   in Loop: Header=BB5_897 Depth=2
	global_load_dwordx2 v[6:7], v3, s[34:35] offset:40
	global_load_dwordx2 v[24:25], v3, s[34:35] offset:24 glc
	global_load_dwordx2 v[26:27], v3, s[34:35]
	v_mov_b32_e32 v2, s53
	s_waitcnt vmcnt(2)
	v_add_co_u32_e32 v5, vcc, 1, v6
	v_addc_co_u32_e32 v23, vcc, 0, v7, vcc
	v_add_co_u32_e32 v20, vcc, s52, v5
	v_addc_co_u32_e32 v21, vcc, v23, v2, vcc
	v_cmp_eq_u64_e32 vcc, 0, v[20:21]
	v_cndmask_b32_e32 v21, v21, v23, vcc
	v_cndmask_b32_e32 v20, v20, v5, vcc
	v_and_b32_e32 v2, v21, v7
	v_and_b32_e32 v5, v20, v6
	v_mul_lo_u32 v2, v2, 24
	v_mul_hi_u32 v6, v5, 24
	v_mul_lo_u32 v5, v5, 24
	v_add_u32_e32 v2, v6, v2
	s_waitcnt vmcnt(0)
	v_add_co_u32_e32 v6, vcc, v26, v5
	v_addc_co_u32_e32 v7, vcc, v27, v2, vcc
	v_mov_b32_e32 v22, v24
	global_store_dwordx2 v[6:7], v[24:25], off
	v_mov_b32_e32 v23, v25
	buffer_wbl2
	s_waitcnt vmcnt(0)
	global_atomic_cmpswap_x2 v[22:23], v3, v[20:23], s[34:35] offset:24 glc
	s_waitcnt vmcnt(0)
	v_cmp_ne_u64_e32 vcc, v[22:23], v[24:25]
	s_and_b64 exec, exec, vcc
	s_cbranch_execz .LBB5_896
; %bb.976:                              ;   in Loop: Header=BB5_897 Depth=2
	s_mov_b64 s[4:5], 0
.LBB5_977:                              ;   Parent Loop BB5_278 Depth=1
                                        ;     Parent Loop BB5_897 Depth=2
                                        ; =>    This Inner Loop Header: Depth=3
	s_sleep 1
	global_store_dwordx2 v[6:7], v[22:23], off
	buffer_wbl2
	s_waitcnt vmcnt(0)
	global_atomic_cmpswap_x2 v[24:25], v3, v[20:23], s[34:35] offset:24 glc
	s_waitcnt vmcnt(0)
	v_cmp_eq_u64_e32 vcc, v[24:25], v[22:23]
	s_or_b64 s[4:5], vcc, s[4:5]
	v_pk_mov_b32 v[22:23], v[24:25], v[24:25] op_sel:[0,1]
	s_andn2_b64 exec, exec, s[4:5]
	s_cbranch_execnz .LBB5_977
	s_branch .LBB5_896
.LBB5_978:                              ;   in Loop: Header=BB5_278 Depth=1
	s_branch .LBB5_1008
.LBB5_979:                              ;   in Loop: Header=BB5_278 Depth=1
	s_cbranch_execnz .LBB5_1152
	s_branch .LBB5_1291
.LBB5_980:                              ;   in Loop: Header=BB5_278 Depth=1
                                        ; implicit-def: $vgpr18_vgpr19
	s_cbranch_execz .LBB5_1008
; %bb.981:                              ;   in Loop: Header=BB5_278 Depth=1
	v_readfirstlane_b32 s4, v51
	v_cmp_eq_u32_e64 s[4:5], s4, v51
	v_pk_mov_b32 v[6:7], 0, 0
	s_and_saveexec_b64 s[24:25], s[4:5]
	s_cbranch_execz .LBB5_987
; %bb.982:                              ;   in Loop: Header=BB5_278 Depth=1
	global_load_dwordx2 v[20:21], v3, s[34:35] offset:24 glc
	s_waitcnt vmcnt(0)
	buffer_invl2
	buffer_wbinvl1_vol
	global_load_dwordx2 v[6:7], v3, s[34:35] offset:40
	global_load_dwordx2 v[18:19], v3, s[34:35]
	s_waitcnt vmcnt(1)
	v_and_b32_e32 v2, v6, v20
	v_and_b32_e32 v5, v7, v21
	v_mul_lo_u32 v5, v5, 24
	v_mul_hi_u32 v6, v2, 24
	v_mul_lo_u32 v2, v2, 24
	v_add_u32_e32 v5, v6, v5
	s_waitcnt vmcnt(0)
	v_add_co_u32_e32 v6, vcc, v18, v2
	v_addc_co_u32_e32 v7, vcc, v19, v5, vcc
	global_load_dwordx2 v[18:19], v[6:7], off glc
	s_waitcnt vmcnt(0)
	global_atomic_cmpswap_x2 v[6:7], v3, v[18:21], s[34:35] offset:24 glc
	s_waitcnt vmcnt(0)
	buffer_invl2
	buffer_wbinvl1_vol
	v_cmp_ne_u64_e32 vcc, v[6:7], v[20:21]
	s_and_saveexec_b64 s[28:29], vcc
	s_cbranch_execz .LBB5_986
; %bb.983:                              ;   in Loop: Header=BB5_278 Depth=1
	s_mov_b64 s[30:31], 0
.LBB5_984:                              ;   Parent Loop BB5_278 Depth=1
                                        ; =>  This Inner Loop Header: Depth=2
	s_sleep 1
	global_load_dwordx2 v[18:19], v3, s[34:35] offset:40
	global_load_dwordx2 v[22:23], v3, s[34:35]
	v_pk_mov_b32 v[20:21], v[6:7], v[6:7] op_sel:[0,1]
	s_waitcnt vmcnt(1)
	v_and_b32_e32 v2, v18, v20
	s_waitcnt vmcnt(0)
	v_mad_u64_u32 v[6:7], s[52:53], v2, 24, v[22:23]
	v_and_b32_e32 v5, v19, v21
	v_mov_b32_e32 v2, v7
	v_mad_u64_u32 v[18:19], s[52:53], v5, 24, v[2:3]
	v_mov_b32_e32 v7, v18
	global_load_dwordx2 v[18:19], v[6:7], off glc
	s_waitcnt vmcnt(0)
	global_atomic_cmpswap_x2 v[6:7], v3, v[18:21], s[34:35] offset:24 glc
	s_waitcnt vmcnt(0)
	buffer_invl2
	buffer_wbinvl1_vol
	v_cmp_eq_u64_e32 vcc, v[6:7], v[20:21]
	s_or_b64 s[30:31], vcc, s[30:31]
	s_andn2_b64 exec, exec, s[30:31]
	s_cbranch_execnz .LBB5_984
; %bb.985:                              ;   in Loop: Header=BB5_278 Depth=1
	s_or_b64 exec, exec, s[30:31]
.LBB5_986:                              ;   in Loop: Header=BB5_278 Depth=1
	s_or_b64 exec, exec, s[28:29]
.LBB5_987:                              ;   in Loop: Header=BB5_278 Depth=1
	s_or_b64 exec, exec, s[24:25]
	global_load_dwordx2 v[22:23], v3, s[34:35] offset:40
	global_load_dwordx4 v[18:21], v3, s[34:35]
	v_readfirstlane_b32 s24, v6
	v_readfirstlane_b32 s25, v7
	s_mov_b64 s[28:29], exec
	s_waitcnt vmcnt(1)
	v_readfirstlane_b32 s30, v22
	v_readfirstlane_b32 s31, v23
	s_and_b64 s[30:31], s[24:25], s[30:31]
	s_mul_i32 s52, s31, 24
	s_mul_hi_u32 s53, s30, 24
	s_mul_i32 s54, s30, 24
	s_add_i32 s52, s53, s52
	v_mov_b32_e32 v2, s52
	s_waitcnt vmcnt(0)
	v_add_co_u32_e32 v22, vcc, s54, v18
	v_addc_co_u32_e32 v23, vcc, v19, v2, vcc
	s_and_saveexec_b64 s[52:53], s[4:5]
	s_cbranch_execz .LBB5_989
; %bb.988:                              ;   in Loop: Header=BB5_278 Depth=1
	v_pk_mov_b32 v[6:7], s[28:29], s[28:29] op_sel:[0,1]
	global_store_dwordx4 v[22:23], v[6:9], off offset:8
.LBB5_989:                              ;   in Loop: Header=BB5_278 Depth=1
	s_or_b64 exec, exec, s[52:53]
	s_lshl_b64 s[28:29], s[30:31], 12
	v_mov_b32_e32 v2, s29
	v_add_co_u32_e32 v6, vcc, s28, v20
	v_addc_co_u32_e32 v5, vcc, v21, v2, vcc
	v_pk_mov_b32 v[26:27], s[10:11], s[10:11] op_sel:[0,1]
	v_and_or_b32 v0, v0, s33, 32
	v_mov_b32_e32 v2, v3
	v_readfirstlane_b32 s28, v6
	v_readfirstlane_b32 s29, v5
	v_pk_mov_b32 v[24:25], s[8:9], s[8:9] op_sel:[0,1]
	s_nop 3
	global_store_dwordx4 v50, v[0:3], s[28:29]
	global_store_dwordx4 v50, v[24:27], s[28:29] offset:16
	global_store_dwordx4 v50, v[24:27], s[28:29] offset:32
	;; [unrolled: 1-line block ×3, first 2 shown]
	s_and_saveexec_b64 s[28:29], s[4:5]
	s_cbranch_execz .LBB5_997
; %bb.990:                              ;   in Loop: Header=BB5_278 Depth=1
	global_load_dwordx2 v[26:27], v3, s[34:35] offset:32 glc
	global_load_dwordx2 v[0:1], v3, s[34:35] offset:40
	v_mov_b32_e32 v24, s24
	v_mov_b32_e32 v25, s25
	s_waitcnt vmcnt(0)
	v_readfirstlane_b32 s30, v0
	v_readfirstlane_b32 s31, v1
	s_and_b64 s[30:31], s[30:31], s[24:25]
	s_mul_i32 s31, s31, 24
	s_mul_hi_u32 s52, s30, 24
	s_mul_i32 s30, s30, 24
	s_add_i32 s31, s52, s31
	v_mov_b32_e32 v1, s31
	v_add_co_u32_e32 v0, vcc, s30, v18
	v_addc_co_u32_e32 v1, vcc, v19, v1, vcc
	global_store_dwordx2 v[0:1], v[26:27], off
	buffer_wbl2
	s_waitcnt vmcnt(0)
	global_atomic_cmpswap_x2 v[20:21], v3, v[24:27], s[34:35] offset:32 glc
	s_waitcnt vmcnt(0)
	v_cmp_ne_u64_e32 vcc, v[20:21], v[26:27]
	s_and_saveexec_b64 s[30:31], vcc
	s_cbranch_execz .LBB5_993
; %bb.991:                              ;   in Loop: Header=BB5_278 Depth=1
	s_mov_b64 s[52:53], 0
.LBB5_992:                              ;   Parent Loop BB5_278 Depth=1
                                        ; =>  This Inner Loop Header: Depth=2
	s_sleep 1
	global_store_dwordx2 v[0:1], v[20:21], off
	v_mov_b32_e32 v18, s24
	v_mov_b32_e32 v19, s25
	buffer_wbl2
	s_waitcnt vmcnt(0)
	global_atomic_cmpswap_x2 v[18:19], v3, v[18:21], s[34:35] offset:32 glc
	s_waitcnt vmcnt(0)
	v_cmp_eq_u64_e32 vcc, v[18:19], v[20:21]
	s_or_b64 s[52:53], vcc, s[52:53]
	v_pk_mov_b32 v[20:21], v[18:19], v[18:19] op_sel:[0,1]
	s_andn2_b64 exec, exec, s[52:53]
	s_cbranch_execnz .LBB5_992
.LBB5_993:                              ;   in Loop: Header=BB5_278 Depth=1
	s_or_b64 exec, exec, s[30:31]
	global_load_dwordx2 v[0:1], v3, s[34:35] offset:16
	s_mov_b64 s[52:53], exec
	v_mbcnt_lo_u32_b32 v2, s52, 0
	v_mbcnt_hi_u32_b32 v2, s53, v2
	v_cmp_eq_u32_e32 vcc, 0, v2
	s_and_saveexec_b64 s[30:31], vcc
	s_cbranch_execz .LBB5_995
; %bb.994:                              ;   in Loop: Header=BB5_278 Depth=1
	s_bcnt1_i32_b64 s52, s[52:53]
	v_mov_b32_e32 v2, s52
	buffer_wbl2
	s_waitcnt vmcnt(0)
	global_atomic_add_x2 v[0:1], v[2:3], off offset:8
.LBB5_995:                              ;   in Loop: Header=BB5_278 Depth=1
	s_or_b64 exec, exec, s[30:31]
	s_waitcnt vmcnt(0)
	global_load_dwordx2 v[18:19], v[0:1], off offset:16
	s_waitcnt vmcnt(0)
	v_cmp_eq_u64_e32 vcc, 0, v[18:19]
	s_cbranch_vccnz .LBB5_997
; %bb.996:                              ;   in Loop: Header=BB5_278 Depth=1
	global_load_dword v2, v[0:1], off offset:24
	s_waitcnt vmcnt(0)
	v_and_b32_e32 v0, 0xffffff, v2
	v_readfirstlane_b32 m0, v0
	buffer_wbl2
	global_store_dwordx2 v[18:19], v[2:3], off
	s_sendmsg sendmsg(MSG_INTERRUPT)
.LBB5_997:                              ;   in Loop: Header=BB5_278 Depth=1
	s_or_b64 exec, exec, s[28:29]
	v_add_co_u32_e32 v0, vcc, v6, v50
	v_addc_co_u32_e32 v1, vcc, 0, v5, vcc
	s_branch .LBB5_1001
.LBB5_998:                              ;   in Loop: Header=BB5_1001 Depth=2
	s_or_b64 exec, exec, s[28:29]
	v_readfirstlane_b32 s28, v2
	s_cmp_eq_u32 s28, 0
	s_cbranch_scc1 .LBB5_1000
; %bb.999:                              ;   in Loop: Header=BB5_1001 Depth=2
	s_sleep 1
	s_cbranch_execnz .LBB5_1001
	s_branch .LBB5_1003
.LBB5_1000:                             ;   in Loop: Header=BB5_278 Depth=1
	s_branch .LBB5_1003
.LBB5_1001:                             ;   Parent Loop BB5_278 Depth=1
                                        ; =>  This Inner Loop Header: Depth=2
	v_mov_b32_e32 v2, 1
	s_and_saveexec_b64 s[28:29], s[4:5]
	s_cbranch_execz .LBB5_998
; %bb.1002:                             ;   in Loop: Header=BB5_1001 Depth=2
	global_load_dword v2, v[22:23], off offset:20 glc
	s_waitcnt vmcnt(0)
	buffer_invl2
	buffer_wbinvl1_vol
	v_and_b32_e32 v2, 1, v2
	s_branch .LBB5_998
.LBB5_1003:                             ;   in Loop: Header=BB5_278 Depth=1
	global_load_dwordx2 v[18:19], v[0:1], off
	s_and_saveexec_b64 s[28:29], s[4:5]
	s_cbranch_execz .LBB5_1007
; %bb.1004:                             ;   in Loop: Header=BB5_278 Depth=1
	global_load_dwordx2 v[0:1], v3, s[34:35] offset:40
	global_load_dwordx2 v[6:7], v3, s[34:35] offset:24 glc
	global_load_dwordx2 v[24:25], v3, s[34:35]
	v_mov_b32_e32 v2, s25
	s_waitcnt vmcnt(2)
	v_add_co_u32_e32 v5, vcc, 1, v0
	v_addc_co_u32_e32 v23, vcc, 0, v1, vcc
	v_add_co_u32_e32 v20, vcc, s24, v5
	v_addc_co_u32_e32 v21, vcc, v23, v2, vcc
	v_cmp_eq_u64_e32 vcc, 0, v[20:21]
	v_cndmask_b32_e32 v21, v21, v23, vcc
	v_cndmask_b32_e32 v20, v20, v5, vcc
	v_and_b32_e32 v1, v21, v1
	v_and_b32_e32 v0, v20, v0
	v_mul_lo_u32 v1, v1, 24
	v_mul_hi_u32 v2, v0, 24
	v_mul_lo_u32 v0, v0, 24
	v_add_u32_e32 v1, v2, v1
	s_waitcnt vmcnt(0)
	v_add_co_u32_e32 v0, vcc, v24, v0
	v_addc_co_u32_e32 v1, vcc, v25, v1, vcc
	v_mov_b32_e32 v22, v6
	global_store_dwordx2 v[0:1], v[6:7], off
	v_mov_b32_e32 v23, v7
	buffer_wbl2
	s_waitcnt vmcnt(0)
	global_atomic_cmpswap_x2 v[22:23], v3, v[20:23], s[34:35] offset:24 glc
	s_waitcnt vmcnt(0)
	v_cmp_ne_u64_e32 vcc, v[22:23], v[6:7]
	s_and_b64 exec, exec, vcc
	s_cbranch_execz .LBB5_1007
; %bb.1005:                             ;   in Loop: Header=BB5_278 Depth=1
	s_mov_b64 s[4:5], 0
.LBB5_1006:                             ;   Parent Loop BB5_278 Depth=1
                                        ; =>  This Inner Loop Header: Depth=2
	s_sleep 1
	global_store_dwordx2 v[0:1], v[22:23], off
	buffer_wbl2
	s_waitcnt vmcnt(0)
	global_atomic_cmpswap_x2 v[6:7], v3, v[20:23], s[34:35] offset:24 glc
	s_waitcnt vmcnt(0)
	v_cmp_eq_u64_e32 vcc, v[6:7], v[22:23]
	s_or_b64 s[4:5], vcc, s[4:5]
	v_pk_mov_b32 v[22:23], v[6:7], v[6:7] op_sel:[0,1]
	s_andn2_b64 exec, exec, s[4:5]
	s_cbranch_execnz .LBB5_1006
.LBB5_1007:                             ;   in Loop: Header=BB5_278 Depth=1
	s_or_b64 exec, exec, s[28:29]
.LBB5_1008:                             ;   in Loop: Header=BB5_278 Depth=1
	s_and_b32 s28, s61, 1
	s_getpc_b64 s[4:5]
	s_add_u32 s4, s4, .str.5@rel32@lo+4
	s_addc_u32 s5, s5, .str.5@rel32@hi+12
	s_getpc_b64 s[24:25]
	s_add_u32 s24, s24, .str.4@rel32@lo+4
	s_addc_u32 s25, s25, .str.4@rel32@hi+12
	s_cmp_eq_u32 s28, 0
	s_cselect_b32 s25, s5, s25
	s_cselect_b32 s24, s4, s24
	s_cmp_lg_u64 s[24:25], 0
	s_cselect_b64 s[4:5], -1, 0
	s_cmp_eq_u64 s[24:25], 0
	s_mov_b64 s[28:29], 0
	s_cbranch_scc1 .LBB5_1012
; %bb.1009:                             ;   in Loop: Header=BB5_278 Depth=1
	s_add_u32 s28, s24, -1
	s_addc_u32 s29, s25, -1
.LBB5_1010:                             ;   Parent Loop BB5_278 Depth=1
                                        ; =>  This Inner Loop Header: Depth=2
	global_load_ubyte v0, v3, s[28:29] offset:1
	s_add_u32 s30, s28, 1
	s_addc_u32 s31, s29, 0
	s_mov_b64 s[28:29], s[30:31]
	s_waitcnt vmcnt(0)
	v_cmp_ne_u16_e32 vcc, 0, v0
	s_cbranch_vccnz .LBB5_1010
; %bb.1011:                             ;   in Loop: Header=BB5_278 Depth=1
	s_sub_u32 s28, s30, s24
	s_subb_u32 s29, s31, s25
	s_add_u32 s28, s28, 1
	s_addc_u32 s29, s29, 0
.LBB5_1012:                             ;   in Loop: Header=BB5_278 Depth=1
	s_and_b64 vcc, exec, s[4:5]
	s_cbranch_vccz .LBB5_1097
; %bb.1013:                             ;   in Loop: Header=BB5_278 Depth=1
	s_waitcnt vmcnt(0)
	v_and_b32_e32 v0, 2, v18
	v_and_b32_e32 v20, -3, v18
	v_mov_b32_e32 v21, v19
	s_branch .LBB5_1015
.LBB5_1014:                             ;   in Loop: Header=BB5_1015 Depth=2
	s_or_b64 exec, exec, s[54:55]
	s_sub_u32 s28, s28, s30
	s_subb_u32 s29, s29, s31
	s_add_u32 s24, s24, s30
	s_addc_u32 s25, s25, s31
	s_cmp_lg_u64 s[28:29], 0
	s_cbranch_scc0 .LBB5_1096
.LBB5_1015:                             ;   Parent Loop BB5_278 Depth=1
                                        ; =>  This Loop Header: Depth=2
                                        ;       Child Loop BB5_1018 Depth 3
                                        ;       Child Loop BB5_1025 Depth 3
	;; [unrolled: 1-line block ×11, first 2 shown]
	v_cmp_lt_u64_e64 s[4:5], s[28:29], 56
	s_and_b64 s[4:5], s[4:5], exec
	v_cmp_gt_u64_e64 s[4:5], s[28:29], 7
	s_cselect_b32 s31, s29, 0
	s_cselect_b32 s30, s28, 56
	s_and_b64 vcc, exec, s[4:5]
	s_cbranch_vccnz .LBB5_1020
; %bb.1016:                             ;   in Loop: Header=BB5_1015 Depth=2
	s_mov_b64 s[4:5], 0
	s_cmp_eq_u64 s[28:29], 0
	s_waitcnt vmcnt(0)
	v_pk_mov_b32 v[22:23], 0, 0
	s_cbranch_scc1 .LBB5_1019
; %bb.1017:                             ;   in Loop: Header=BB5_1015 Depth=2
	s_lshl_b64 s[52:53], s[30:31], 3
	s_mov_b64 s[54:55], 0
	v_pk_mov_b32 v[22:23], 0, 0
	s_mov_b64 s[56:57], s[24:25]
.LBB5_1018:                             ;   Parent Loop BB5_278 Depth=1
                                        ;     Parent Loop BB5_1015 Depth=2
                                        ; =>    This Inner Loop Header: Depth=3
	global_load_ubyte v1, v3, s[56:57]
	s_waitcnt vmcnt(0)
	v_and_b32_e32 v2, 0xffff, v1
	v_lshlrev_b64 v[6:7], s54, v[2:3]
	s_add_u32 s54, s54, 8
	s_addc_u32 s55, s55, 0
	s_add_u32 s56, s56, 1
	s_addc_u32 s57, s57, 0
	v_or_b32_e32 v22, v6, v22
	s_cmp_lg_u32 s52, s54
	v_or_b32_e32 v23, v7, v23
	s_cbranch_scc1 .LBB5_1018
.LBB5_1019:                             ;   in Loop: Header=BB5_1015 Depth=2
	s_mov_b32 s56, 0
	s_andn2_b64 vcc, exec, s[4:5]
	s_mov_b64 s[4:5], s[24:25]
	s_cbranch_vccz .LBB5_1021
	s_branch .LBB5_1022
.LBB5_1020:                             ;   in Loop: Header=BB5_1015 Depth=2
                                        ; implicit-def: $vgpr22_vgpr23
                                        ; implicit-def: $sgpr56
	s_mov_b64 s[4:5], s[24:25]
.LBB5_1021:                             ;   in Loop: Header=BB5_1015 Depth=2
	global_load_dwordx2 v[22:23], v3, s[24:25]
	s_add_i32 s56, s30, -8
	s_add_u32 s4, s24, 8
	s_addc_u32 s5, s25, 0
.LBB5_1022:                             ;   in Loop: Header=BB5_1015 Depth=2
	s_cmp_gt_u32 s56, 7
	s_cbranch_scc1 .LBB5_1026
; %bb.1023:                             ;   in Loop: Header=BB5_1015 Depth=2
	s_cmp_eq_u32 s56, 0
	s_cbranch_scc1 .LBB5_1027
; %bb.1024:                             ;   in Loop: Header=BB5_1015 Depth=2
	s_mov_b64 s[52:53], 0
	v_pk_mov_b32 v[24:25], 0, 0
	s_mov_b64 s[54:55], 0
.LBB5_1025:                             ;   Parent Loop BB5_278 Depth=1
                                        ;     Parent Loop BB5_1015 Depth=2
                                        ; =>    This Inner Loop Header: Depth=3
	s_add_u32 s58, s4, s54
	s_addc_u32 s59, s5, s55
	global_load_ubyte v1, v3, s[58:59]
	s_add_u32 s54, s54, 1
	s_addc_u32 s55, s55, 0
	s_waitcnt vmcnt(0)
	v_and_b32_e32 v2, 0xffff, v1
	v_lshlrev_b64 v[6:7], s52, v[2:3]
	s_add_u32 s52, s52, 8
	s_addc_u32 s53, s53, 0
	v_or_b32_e32 v24, v6, v24
	s_cmp_lg_u32 s56, s54
	v_or_b32_e32 v25, v7, v25
	s_cbranch_scc1 .LBB5_1025
	s_branch .LBB5_1028
.LBB5_1026:                             ;   in Loop: Header=BB5_1015 Depth=2
                                        ; implicit-def: $vgpr24_vgpr25
                                        ; implicit-def: $sgpr57
	s_branch .LBB5_1029
.LBB5_1027:                             ;   in Loop: Header=BB5_1015 Depth=2
	v_pk_mov_b32 v[24:25], 0, 0
.LBB5_1028:                             ;   in Loop: Header=BB5_1015 Depth=2
	s_mov_b32 s57, 0
	s_cbranch_execnz .LBB5_1030
.LBB5_1029:                             ;   in Loop: Header=BB5_1015 Depth=2
	global_load_dwordx2 v[24:25], v3, s[4:5]
	s_add_i32 s57, s56, -8
	s_add_u32 s4, s4, 8
	s_addc_u32 s5, s5, 0
.LBB5_1030:                             ;   in Loop: Header=BB5_1015 Depth=2
	s_cmp_gt_u32 s57, 7
	s_cbranch_scc1 .LBB5_1034
; %bb.1031:                             ;   in Loop: Header=BB5_1015 Depth=2
	s_cmp_eq_u32 s57, 0
	s_cbranch_scc1 .LBB5_1035
; %bb.1032:                             ;   in Loop: Header=BB5_1015 Depth=2
	s_mov_b64 s[52:53], 0
	v_pk_mov_b32 v[26:27], 0, 0
	s_mov_b64 s[54:55], 0
.LBB5_1033:                             ;   Parent Loop BB5_278 Depth=1
                                        ;     Parent Loop BB5_1015 Depth=2
                                        ; =>    This Inner Loop Header: Depth=3
	s_add_u32 s58, s4, s54
	s_addc_u32 s59, s5, s55
	global_load_ubyte v1, v3, s[58:59]
	s_add_u32 s54, s54, 1
	s_addc_u32 s55, s55, 0
	s_waitcnt vmcnt(0)
	v_and_b32_e32 v2, 0xffff, v1
	v_lshlrev_b64 v[6:7], s52, v[2:3]
	s_add_u32 s52, s52, 8
	s_addc_u32 s53, s53, 0
	v_or_b32_e32 v26, v6, v26
	s_cmp_lg_u32 s57, s54
	v_or_b32_e32 v27, v7, v27
	s_cbranch_scc1 .LBB5_1033
	s_branch .LBB5_1036
.LBB5_1034:                             ;   in Loop: Header=BB5_1015 Depth=2
                                        ; implicit-def: $sgpr56
	s_branch .LBB5_1037
.LBB5_1035:                             ;   in Loop: Header=BB5_1015 Depth=2
	v_pk_mov_b32 v[26:27], 0, 0
.LBB5_1036:                             ;   in Loop: Header=BB5_1015 Depth=2
	s_mov_b32 s56, 0
	s_cbranch_execnz .LBB5_1038
.LBB5_1037:                             ;   in Loop: Header=BB5_1015 Depth=2
	global_load_dwordx2 v[26:27], v3, s[4:5]
	s_add_i32 s56, s57, -8
	s_add_u32 s4, s4, 8
	s_addc_u32 s5, s5, 0
.LBB5_1038:                             ;   in Loop: Header=BB5_1015 Depth=2
	s_cmp_gt_u32 s56, 7
	s_cbranch_scc1 .LBB5_1042
; %bb.1039:                             ;   in Loop: Header=BB5_1015 Depth=2
	s_cmp_eq_u32 s56, 0
	s_cbranch_scc1 .LBB5_1043
; %bb.1040:                             ;   in Loop: Header=BB5_1015 Depth=2
	s_mov_b64 s[52:53], 0
	v_pk_mov_b32 v[28:29], 0, 0
	s_mov_b64 s[54:55], 0
.LBB5_1041:                             ;   Parent Loop BB5_278 Depth=1
                                        ;     Parent Loop BB5_1015 Depth=2
                                        ; =>    This Inner Loop Header: Depth=3
	s_add_u32 s58, s4, s54
	s_addc_u32 s59, s5, s55
	global_load_ubyte v1, v3, s[58:59]
	s_add_u32 s54, s54, 1
	s_addc_u32 s55, s55, 0
	s_waitcnt vmcnt(0)
	v_and_b32_e32 v2, 0xffff, v1
	v_lshlrev_b64 v[6:7], s52, v[2:3]
	s_add_u32 s52, s52, 8
	s_addc_u32 s53, s53, 0
	v_or_b32_e32 v28, v6, v28
	s_cmp_lg_u32 s56, s54
	v_or_b32_e32 v29, v7, v29
	s_cbranch_scc1 .LBB5_1041
	s_branch .LBB5_1044
.LBB5_1042:                             ;   in Loop: Header=BB5_1015 Depth=2
                                        ; implicit-def: $vgpr28_vgpr29
                                        ; implicit-def: $sgpr57
	s_branch .LBB5_1045
.LBB5_1043:                             ;   in Loop: Header=BB5_1015 Depth=2
	v_pk_mov_b32 v[28:29], 0, 0
.LBB5_1044:                             ;   in Loop: Header=BB5_1015 Depth=2
	s_mov_b32 s57, 0
	s_cbranch_execnz .LBB5_1046
.LBB5_1045:                             ;   in Loop: Header=BB5_1015 Depth=2
	global_load_dwordx2 v[28:29], v3, s[4:5]
	s_add_i32 s57, s56, -8
	s_add_u32 s4, s4, 8
	s_addc_u32 s5, s5, 0
.LBB5_1046:                             ;   in Loop: Header=BB5_1015 Depth=2
	s_cmp_gt_u32 s57, 7
	s_cbranch_scc1 .LBB5_1050
; %bb.1047:                             ;   in Loop: Header=BB5_1015 Depth=2
	s_cmp_eq_u32 s57, 0
	s_cbranch_scc1 .LBB5_1051
; %bb.1048:                             ;   in Loop: Header=BB5_1015 Depth=2
	s_mov_b64 s[52:53], 0
	v_pk_mov_b32 v[30:31], 0, 0
	s_mov_b64 s[54:55], 0
.LBB5_1049:                             ;   Parent Loop BB5_278 Depth=1
                                        ;     Parent Loop BB5_1015 Depth=2
                                        ; =>    This Inner Loop Header: Depth=3
	s_add_u32 s58, s4, s54
	s_addc_u32 s59, s5, s55
	global_load_ubyte v1, v3, s[58:59]
	s_add_u32 s54, s54, 1
	s_addc_u32 s55, s55, 0
	s_waitcnt vmcnt(0)
	v_and_b32_e32 v2, 0xffff, v1
	v_lshlrev_b64 v[6:7], s52, v[2:3]
	s_add_u32 s52, s52, 8
	s_addc_u32 s53, s53, 0
	v_or_b32_e32 v30, v6, v30
	s_cmp_lg_u32 s57, s54
	v_or_b32_e32 v31, v7, v31
	s_cbranch_scc1 .LBB5_1049
	s_branch .LBB5_1052
.LBB5_1050:                             ;   in Loop: Header=BB5_1015 Depth=2
                                        ; implicit-def: $sgpr56
	s_branch .LBB5_1053
.LBB5_1051:                             ;   in Loop: Header=BB5_1015 Depth=2
	v_pk_mov_b32 v[30:31], 0, 0
.LBB5_1052:                             ;   in Loop: Header=BB5_1015 Depth=2
	s_mov_b32 s56, 0
	s_cbranch_execnz .LBB5_1054
.LBB5_1053:                             ;   in Loop: Header=BB5_1015 Depth=2
	global_load_dwordx2 v[30:31], v3, s[4:5]
	s_add_i32 s56, s57, -8
	s_add_u32 s4, s4, 8
	s_addc_u32 s5, s5, 0
.LBB5_1054:                             ;   in Loop: Header=BB5_1015 Depth=2
	s_cmp_gt_u32 s56, 7
	s_cbranch_scc1 .LBB5_1058
; %bb.1055:                             ;   in Loop: Header=BB5_1015 Depth=2
	s_cmp_eq_u32 s56, 0
	s_cbranch_scc1 .LBB5_1059
; %bb.1056:                             ;   in Loop: Header=BB5_1015 Depth=2
	s_mov_b64 s[52:53], 0
	v_pk_mov_b32 v[32:33], 0, 0
	s_mov_b64 s[54:55], 0
.LBB5_1057:                             ;   Parent Loop BB5_278 Depth=1
                                        ;     Parent Loop BB5_1015 Depth=2
                                        ; =>    This Inner Loop Header: Depth=3
	s_add_u32 s58, s4, s54
	s_addc_u32 s59, s5, s55
	global_load_ubyte v1, v3, s[58:59]
	s_add_u32 s54, s54, 1
	s_addc_u32 s55, s55, 0
	s_waitcnt vmcnt(0)
	v_and_b32_e32 v2, 0xffff, v1
	v_lshlrev_b64 v[6:7], s52, v[2:3]
	s_add_u32 s52, s52, 8
	s_addc_u32 s53, s53, 0
	v_or_b32_e32 v32, v6, v32
	s_cmp_lg_u32 s56, s54
	v_or_b32_e32 v33, v7, v33
	s_cbranch_scc1 .LBB5_1057
	s_branch .LBB5_1060
.LBB5_1058:                             ;   in Loop: Header=BB5_1015 Depth=2
                                        ; implicit-def: $vgpr32_vgpr33
                                        ; implicit-def: $sgpr57
	s_branch .LBB5_1061
.LBB5_1059:                             ;   in Loop: Header=BB5_1015 Depth=2
	v_pk_mov_b32 v[32:33], 0, 0
.LBB5_1060:                             ;   in Loop: Header=BB5_1015 Depth=2
	s_mov_b32 s57, 0
	s_cbranch_execnz .LBB5_1062
.LBB5_1061:                             ;   in Loop: Header=BB5_1015 Depth=2
	global_load_dwordx2 v[32:33], v3, s[4:5]
	s_add_i32 s57, s56, -8
	s_add_u32 s4, s4, 8
	s_addc_u32 s5, s5, 0
.LBB5_1062:                             ;   in Loop: Header=BB5_1015 Depth=2
	s_cmp_gt_u32 s57, 7
	s_cbranch_scc1 .LBB5_1066
; %bb.1063:                             ;   in Loop: Header=BB5_1015 Depth=2
	s_cmp_eq_u32 s57, 0
	s_cbranch_scc1 .LBB5_1067
; %bb.1064:                             ;   in Loop: Header=BB5_1015 Depth=2
	s_mov_b64 s[52:53], 0
	v_pk_mov_b32 v[34:35], 0, 0
	s_mov_b64 s[54:55], s[4:5]
.LBB5_1065:                             ;   Parent Loop BB5_278 Depth=1
                                        ;     Parent Loop BB5_1015 Depth=2
                                        ; =>    This Inner Loop Header: Depth=3
	global_load_ubyte v1, v3, s[54:55]
	s_add_i32 s57, s57, -1
	s_waitcnt vmcnt(0)
	v_and_b32_e32 v2, 0xffff, v1
	v_lshlrev_b64 v[6:7], s52, v[2:3]
	s_add_u32 s52, s52, 8
	s_addc_u32 s53, s53, 0
	s_add_u32 s54, s54, 1
	s_addc_u32 s55, s55, 0
	v_or_b32_e32 v34, v6, v34
	s_cmp_lg_u32 s57, 0
	v_or_b32_e32 v35, v7, v35
	s_cbranch_scc1 .LBB5_1065
	s_branch .LBB5_1068
.LBB5_1066:                             ;   in Loop: Header=BB5_1015 Depth=2
	s_branch .LBB5_1069
.LBB5_1067:                             ;   in Loop: Header=BB5_1015 Depth=2
	v_pk_mov_b32 v[34:35], 0, 0
.LBB5_1068:                             ;   in Loop: Header=BB5_1015 Depth=2
	s_cbranch_execnz .LBB5_1070
.LBB5_1069:                             ;   in Loop: Header=BB5_1015 Depth=2
	global_load_dwordx2 v[34:35], v3, s[4:5]
.LBB5_1070:                             ;   in Loop: Header=BB5_1015 Depth=2
	v_readfirstlane_b32 s4, v51
	v_cmp_eq_u32_e64 s[4:5], s4, v51
	v_pk_mov_b32 v[6:7], 0, 0
	s_and_saveexec_b64 s[52:53], s[4:5]
	s_cbranch_execz .LBB5_1076
; %bb.1071:                             ;   in Loop: Header=BB5_1015 Depth=2
	global_load_dwordx2 v[38:39], v3, s[34:35] offset:24 glc
	s_waitcnt vmcnt(0)
	buffer_invl2
	buffer_wbinvl1_vol
	global_load_dwordx2 v[6:7], v3, s[34:35] offset:40
	global_load_dwordx2 v[36:37], v3, s[34:35]
	s_waitcnt vmcnt(1)
	v_and_b32_e32 v1, v6, v38
	v_and_b32_e32 v2, v7, v39
	v_mul_lo_u32 v2, v2, 24
	v_mul_hi_u32 v5, v1, 24
	v_mul_lo_u32 v1, v1, 24
	v_add_u32_e32 v2, v5, v2
	s_waitcnt vmcnt(0)
	v_add_co_u32_e32 v6, vcc, v36, v1
	v_addc_co_u32_e32 v7, vcc, v37, v2, vcc
	global_load_dwordx2 v[36:37], v[6:7], off glc
	s_waitcnt vmcnt(0)
	global_atomic_cmpswap_x2 v[6:7], v3, v[36:39], s[34:35] offset:24 glc
	s_waitcnt vmcnt(0)
	buffer_invl2
	buffer_wbinvl1_vol
	v_cmp_ne_u64_e32 vcc, v[6:7], v[38:39]
	s_and_saveexec_b64 s[54:55], vcc
	s_cbranch_execz .LBB5_1075
; %bb.1072:                             ;   in Loop: Header=BB5_1015 Depth=2
	s_mov_b64 s[56:57], 0
.LBB5_1073:                             ;   Parent Loop BB5_278 Depth=1
                                        ;     Parent Loop BB5_1015 Depth=2
                                        ; =>    This Inner Loop Header: Depth=3
	s_sleep 1
	global_load_dwordx2 v[36:37], v3, s[34:35] offset:40
	global_load_dwordx2 v[40:41], v3, s[34:35]
	v_pk_mov_b32 v[38:39], v[6:7], v[6:7] op_sel:[0,1]
	s_waitcnt vmcnt(1)
	v_and_b32_e32 v2, v36, v38
	s_waitcnt vmcnt(0)
	v_mad_u64_u32 v[6:7], s[58:59], v2, 24, v[40:41]
	v_and_b32_e32 v1, v37, v39
	v_mov_b32_e32 v2, v7
	v_mad_u64_u32 v[36:37], s[58:59], v1, 24, v[2:3]
	v_mov_b32_e32 v7, v36
	global_load_dwordx2 v[36:37], v[6:7], off glc
	s_waitcnt vmcnt(0)
	global_atomic_cmpswap_x2 v[6:7], v3, v[36:39], s[34:35] offset:24 glc
	s_waitcnt vmcnt(0)
	buffer_invl2
	buffer_wbinvl1_vol
	v_cmp_eq_u64_e32 vcc, v[6:7], v[38:39]
	s_or_b64 s[56:57], vcc, s[56:57]
	s_andn2_b64 exec, exec, s[56:57]
	s_cbranch_execnz .LBB5_1073
; %bb.1074:                             ;   in Loop: Header=BB5_1015 Depth=2
	s_or_b64 exec, exec, s[56:57]
.LBB5_1075:                             ;   in Loop: Header=BB5_1015 Depth=2
	s_or_b64 exec, exec, s[54:55]
.LBB5_1076:                             ;   in Loop: Header=BB5_1015 Depth=2
	s_or_b64 exec, exec, s[52:53]
	global_load_dwordx2 v[40:41], v3, s[34:35] offset:40
	global_load_dwordx4 v[36:39], v3, s[34:35]
	v_readfirstlane_b32 s52, v6
	v_readfirstlane_b32 s53, v7
	s_mov_b64 s[54:55], exec
	s_waitcnt vmcnt(1)
	v_readfirstlane_b32 s56, v40
	v_readfirstlane_b32 s57, v41
	s_and_b64 s[56:57], s[52:53], s[56:57]
	s_mul_i32 s58, s57, 24
	s_mul_hi_u32 s59, s56, 24
	s_mul_i32 s62, s56, 24
	s_add_i32 s58, s59, s58
	v_mov_b32_e32 v1, s58
	s_waitcnt vmcnt(0)
	v_add_co_u32_e32 v40, vcc, s62, v36
	v_addc_co_u32_e32 v41, vcc, v37, v1, vcc
	s_and_saveexec_b64 s[58:59], s[4:5]
	s_cbranch_execz .LBB5_1078
; %bb.1077:                             ;   in Loop: Header=BB5_1015 Depth=2
	v_pk_mov_b32 v[6:7], s[54:55], s[54:55] op_sel:[0,1]
	global_store_dwordx4 v[40:41], v[6:9], off offset:8
.LBB5_1078:                             ;   in Loop: Header=BB5_1015 Depth=2
	s_or_b64 exec, exec, s[58:59]
	s_lshl_b64 s[54:55], s[56:57], 12
	v_mov_b32_e32 v1, s55
	v_add_co_u32_e32 v6, vcc, s54, v38
	v_addc_co_u32_e32 v1, vcc, v39, v1, vcc
	v_or_b32_e32 v2, 0, v21
	v_or_b32_e32 v5, v20, v0
	v_cmp_gt_u64_e64 vcc, s[28:29], 56
	s_lshl_b32 s54, s30, 2
	v_cndmask_b32_e32 v21, v2, v21, vcc
	v_cndmask_b32_e32 v2, v5, v20, vcc
	s_add_i32 s54, s54, 28
	s_and_b32 s54, s54, 0x1e0
	v_and_b32_e32 v2, 0xffffff1f, v2
	v_or_b32_e32 v20, s54, v2
	v_readfirstlane_b32 s54, v6
	v_readfirstlane_b32 s55, v1
	s_nop 4
	global_store_dwordx4 v50, v[20:23], s[54:55]
	global_store_dwordx4 v50, v[24:27], s[54:55] offset:16
	global_store_dwordx4 v50, v[28:31], s[54:55] offset:32
	;; [unrolled: 1-line block ×3, first 2 shown]
	s_and_saveexec_b64 s[54:55], s[4:5]
	s_cbranch_execz .LBB5_1086
; %bb.1079:                             ;   in Loop: Header=BB5_1015 Depth=2
	global_load_dwordx2 v[28:29], v3, s[34:35] offset:32 glc
	global_load_dwordx2 v[20:21], v3, s[34:35] offset:40
	v_mov_b32_e32 v26, s52
	v_mov_b32_e32 v27, s53
	s_waitcnt vmcnt(0)
	v_readfirstlane_b32 s56, v20
	v_readfirstlane_b32 s57, v21
	s_and_b64 s[56:57], s[56:57], s[52:53]
	s_mul_i32 s57, s57, 24
	s_mul_hi_u32 s58, s56, 24
	s_mul_i32 s56, s56, 24
	s_add_i32 s57, s58, s57
	v_mov_b32_e32 v2, s57
	v_add_co_u32_e32 v24, vcc, s56, v36
	v_addc_co_u32_e32 v25, vcc, v37, v2, vcc
	global_store_dwordx2 v[24:25], v[28:29], off
	buffer_wbl2
	s_waitcnt vmcnt(0)
	global_atomic_cmpswap_x2 v[22:23], v3, v[26:29], s[34:35] offset:32 glc
	s_waitcnt vmcnt(0)
	v_cmp_ne_u64_e32 vcc, v[22:23], v[28:29]
	s_and_saveexec_b64 s[56:57], vcc
	s_cbranch_execz .LBB5_1082
; %bb.1080:                             ;   in Loop: Header=BB5_1015 Depth=2
	s_mov_b64 s[58:59], 0
.LBB5_1081:                             ;   Parent Loop BB5_278 Depth=1
                                        ;     Parent Loop BB5_1015 Depth=2
                                        ; =>    This Inner Loop Header: Depth=3
	s_sleep 1
	global_store_dwordx2 v[24:25], v[22:23], off
	v_mov_b32_e32 v20, s52
	v_mov_b32_e32 v21, s53
	buffer_wbl2
	s_waitcnt vmcnt(0)
	global_atomic_cmpswap_x2 v[20:21], v3, v[20:23], s[34:35] offset:32 glc
	s_waitcnt vmcnt(0)
	v_cmp_eq_u64_e32 vcc, v[20:21], v[22:23]
	s_or_b64 s[58:59], vcc, s[58:59]
	v_pk_mov_b32 v[22:23], v[20:21], v[20:21] op_sel:[0,1]
	s_andn2_b64 exec, exec, s[58:59]
	s_cbranch_execnz .LBB5_1081
.LBB5_1082:                             ;   in Loop: Header=BB5_1015 Depth=2
	s_or_b64 exec, exec, s[56:57]
	global_load_dwordx2 v[20:21], v3, s[34:35] offset:16
	s_mov_b64 s[58:59], exec
	v_mbcnt_lo_u32_b32 v2, s58, 0
	v_mbcnt_hi_u32_b32 v2, s59, v2
	v_cmp_eq_u32_e32 vcc, 0, v2
	s_and_saveexec_b64 s[56:57], vcc
	s_cbranch_execz .LBB5_1084
; %bb.1083:                             ;   in Loop: Header=BB5_1015 Depth=2
	s_bcnt1_i32_b64 s58, s[58:59]
	v_mov_b32_e32 v2, s58
	buffer_wbl2
	s_waitcnt vmcnt(0)
	global_atomic_add_x2 v[20:21], v[2:3], off offset:8
.LBB5_1084:                             ;   in Loop: Header=BB5_1015 Depth=2
	s_or_b64 exec, exec, s[56:57]
	s_waitcnt vmcnt(0)
	global_load_dwordx2 v[22:23], v[20:21], off offset:16
	s_waitcnt vmcnt(0)
	v_cmp_eq_u64_e32 vcc, 0, v[22:23]
	s_cbranch_vccnz .LBB5_1086
; %bb.1085:                             ;   in Loop: Header=BB5_1015 Depth=2
	global_load_dword v2, v[20:21], off offset:24
	buffer_wbl2
	s_waitcnt vmcnt(0)
	global_store_dwordx2 v[22:23], v[2:3], off
	v_and_b32_e32 v2, 0xffffff, v2
	v_readfirstlane_b32 m0, v2
	s_sendmsg sendmsg(MSG_INTERRUPT)
.LBB5_1086:                             ;   in Loop: Header=BB5_1015 Depth=2
	s_or_b64 exec, exec, s[54:55]
	v_add_co_u32_e32 v6, vcc, v6, v50
	v_addc_co_u32_e32 v7, vcc, 0, v1, vcc
	s_branch .LBB5_1090
.LBB5_1087:                             ;   in Loop: Header=BB5_1090 Depth=3
	s_or_b64 exec, exec, s[54:55]
	v_readfirstlane_b32 s54, v1
	s_cmp_eq_u32 s54, 0
	s_cbranch_scc1 .LBB5_1089
; %bb.1088:                             ;   in Loop: Header=BB5_1090 Depth=3
	s_sleep 1
	s_cbranch_execnz .LBB5_1090
	s_branch .LBB5_1092
.LBB5_1089:                             ;   in Loop: Header=BB5_1015 Depth=2
	s_branch .LBB5_1092
.LBB5_1090:                             ;   Parent Loop BB5_278 Depth=1
                                        ;     Parent Loop BB5_1015 Depth=2
                                        ; =>    This Inner Loop Header: Depth=3
	v_mov_b32_e32 v1, 1
	s_and_saveexec_b64 s[54:55], s[4:5]
	s_cbranch_execz .LBB5_1087
; %bb.1091:                             ;   in Loop: Header=BB5_1090 Depth=3
	global_load_dword v1, v[40:41], off offset:20 glc
	s_waitcnt vmcnt(0)
	buffer_invl2
	buffer_wbinvl1_vol
	v_and_b32_e32 v1, 1, v1
	s_branch .LBB5_1087
.LBB5_1092:                             ;   in Loop: Header=BB5_1015 Depth=2
	global_load_dwordx4 v[20:23], v[6:7], off
	s_and_saveexec_b64 s[54:55], s[4:5]
	s_cbranch_execz .LBB5_1014
; %bb.1093:                             ;   in Loop: Header=BB5_1015 Depth=2
	global_load_dwordx2 v[6:7], v3, s[34:35] offset:40
	global_load_dwordx2 v[26:27], v3, s[34:35] offset:24 glc
	global_load_dwordx2 v[28:29], v3, s[34:35]
	v_mov_b32_e32 v1, s53
	s_waitcnt vmcnt(2)
	v_add_co_u32_e32 v2, vcc, 1, v6
	v_addc_co_u32_e32 v5, vcc, 0, v7, vcc
	v_add_co_u32_e32 v22, vcc, s52, v2
	v_addc_co_u32_e32 v23, vcc, v5, v1, vcc
	v_cmp_eq_u64_e32 vcc, 0, v[22:23]
	v_cndmask_b32_e32 v23, v23, v5, vcc
	v_cndmask_b32_e32 v22, v22, v2, vcc
	v_and_b32_e32 v1, v23, v7
	v_and_b32_e32 v2, v22, v6
	v_mul_lo_u32 v1, v1, 24
	v_mul_hi_u32 v5, v2, 24
	v_mul_lo_u32 v2, v2, 24
	v_add_u32_e32 v1, v5, v1
	s_waitcnt vmcnt(0)
	v_add_co_u32_e32 v6, vcc, v28, v2
	v_addc_co_u32_e32 v7, vcc, v29, v1, vcc
	v_mov_b32_e32 v24, v26
	global_store_dwordx2 v[6:7], v[26:27], off
	v_mov_b32_e32 v25, v27
	buffer_wbl2
	s_waitcnt vmcnt(0)
	global_atomic_cmpswap_x2 v[24:25], v3, v[22:25], s[34:35] offset:24 glc
	s_waitcnt vmcnt(0)
	v_cmp_ne_u64_e32 vcc, v[24:25], v[26:27]
	s_and_b64 exec, exec, vcc
	s_cbranch_execz .LBB5_1014
; %bb.1094:                             ;   in Loop: Header=BB5_1015 Depth=2
	s_mov_b64 s[4:5], 0
.LBB5_1095:                             ;   Parent Loop BB5_278 Depth=1
                                        ;     Parent Loop BB5_1015 Depth=2
                                        ; =>    This Inner Loop Header: Depth=3
	s_sleep 1
	global_store_dwordx2 v[6:7], v[24:25], off
	buffer_wbl2
	s_waitcnt vmcnt(0)
	global_atomic_cmpswap_x2 v[26:27], v3, v[22:25], s[34:35] offset:24 glc
	s_waitcnt vmcnt(0)
	v_cmp_eq_u64_e32 vcc, v[26:27], v[24:25]
	s_or_b64 s[4:5], vcc, s[4:5]
	v_pk_mov_b32 v[24:25], v[26:27], v[26:27] op_sel:[0,1]
	s_andn2_b64 exec, exec, s[4:5]
	s_cbranch_execnz .LBB5_1095
	s_branch .LBB5_1014
.LBB5_1096:                             ;   in Loop: Header=BB5_278 Depth=1
	s_branch .LBB5_1125
.LBB5_1097:                             ;   in Loop: Header=BB5_278 Depth=1
                                        ; implicit-def: $vgpr20_vgpr21
	s_cbranch_execz .LBB5_1125
; %bb.1098:                             ;   in Loop: Header=BB5_278 Depth=1
	v_readfirstlane_b32 s4, v51
	v_cmp_eq_u32_e64 s[4:5], s4, v51
	s_waitcnt vmcnt(0)
	v_pk_mov_b32 v[0:1], 0, 0
	s_and_saveexec_b64 s[24:25], s[4:5]
	s_cbranch_execz .LBB5_1104
; %bb.1099:                             ;   in Loop: Header=BB5_278 Depth=1
	global_load_dwordx2 v[22:23], v3, s[34:35] offset:24 glc
	s_waitcnt vmcnt(0)
	buffer_invl2
	buffer_wbinvl1_vol
	global_load_dwordx2 v[0:1], v3, s[34:35] offset:40
	global_load_dwordx2 v[6:7], v3, s[34:35]
	s_waitcnt vmcnt(1)
	v_and_b32_e32 v0, v0, v22
	v_and_b32_e32 v1, v1, v23
	v_mul_lo_u32 v1, v1, 24
	v_mul_hi_u32 v2, v0, 24
	v_mul_lo_u32 v0, v0, 24
	v_add_u32_e32 v1, v2, v1
	s_waitcnt vmcnt(0)
	v_add_co_u32_e32 v0, vcc, v6, v0
	v_addc_co_u32_e32 v1, vcc, v7, v1, vcc
	global_load_dwordx2 v[20:21], v[0:1], off glc
	s_waitcnt vmcnt(0)
	global_atomic_cmpswap_x2 v[0:1], v3, v[20:23], s[34:35] offset:24 glc
	s_waitcnt vmcnt(0)
	buffer_invl2
	buffer_wbinvl1_vol
	v_cmp_ne_u64_e32 vcc, v[0:1], v[22:23]
	s_and_saveexec_b64 s[28:29], vcc
	s_cbranch_execz .LBB5_1103
; %bb.1100:                             ;   in Loop: Header=BB5_278 Depth=1
	s_mov_b64 s[30:31], 0
.LBB5_1101:                             ;   Parent Loop BB5_278 Depth=1
                                        ; =>  This Inner Loop Header: Depth=2
	s_sleep 1
	global_load_dwordx2 v[6:7], v3, s[34:35] offset:40
	global_load_dwordx2 v[20:21], v3, s[34:35]
	v_pk_mov_b32 v[22:23], v[0:1], v[0:1] op_sel:[0,1]
	s_waitcnt vmcnt(1)
	v_and_b32_e32 v0, v6, v22
	s_waitcnt vmcnt(0)
	v_mad_u64_u32 v[0:1], s[52:53], v0, 24, v[20:21]
	v_and_b32_e32 v5, v7, v23
	v_mov_b32_e32 v2, v1
	v_mad_u64_u32 v[6:7], s[52:53], v5, 24, v[2:3]
	v_mov_b32_e32 v1, v6
	global_load_dwordx2 v[20:21], v[0:1], off glc
	s_waitcnt vmcnt(0)
	global_atomic_cmpswap_x2 v[0:1], v3, v[20:23], s[34:35] offset:24 glc
	s_waitcnt vmcnt(0)
	buffer_invl2
	buffer_wbinvl1_vol
	v_cmp_eq_u64_e32 vcc, v[0:1], v[22:23]
	s_or_b64 s[30:31], vcc, s[30:31]
	s_andn2_b64 exec, exec, s[30:31]
	s_cbranch_execnz .LBB5_1101
; %bb.1102:                             ;   in Loop: Header=BB5_278 Depth=1
	s_or_b64 exec, exec, s[30:31]
.LBB5_1103:                             ;   in Loop: Header=BB5_278 Depth=1
	s_or_b64 exec, exec, s[28:29]
.LBB5_1104:                             ;   in Loop: Header=BB5_278 Depth=1
	s_or_b64 exec, exec, s[24:25]
	global_load_dwordx2 v[6:7], v3, s[34:35] offset:40
	global_load_dwordx4 v[22:25], v3, s[34:35]
	v_readfirstlane_b32 s24, v0
	v_readfirstlane_b32 s25, v1
	s_mov_b64 s[28:29], exec
	s_waitcnt vmcnt(1)
	v_readfirstlane_b32 s30, v6
	v_readfirstlane_b32 s31, v7
	s_and_b64 s[30:31], s[24:25], s[30:31]
	s_mul_i32 s52, s31, 24
	s_mul_hi_u32 s53, s30, 24
	s_mul_i32 s54, s30, 24
	s_add_i32 s52, s53, s52
	v_mov_b32_e32 v1, s52
	s_waitcnt vmcnt(0)
	v_add_co_u32_e32 v0, vcc, s54, v22
	v_addc_co_u32_e32 v1, vcc, v23, v1, vcc
	s_and_saveexec_b64 s[52:53], s[4:5]
	s_cbranch_execz .LBB5_1106
; %bb.1105:                             ;   in Loop: Header=BB5_278 Depth=1
	v_pk_mov_b32 v[6:7], s[28:29], s[28:29] op_sel:[0,1]
	global_store_dwordx4 v[0:1], v[6:9], off offset:8
.LBB5_1106:                             ;   in Loop: Header=BB5_278 Depth=1
	s_or_b64 exec, exec, s[52:53]
	s_lshl_b64 s[28:29], s[30:31], 12
	v_mov_b32_e32 v2, s29
	v_add_co_u32_e32 v6, vcc, s28, v24
	v_addc_co_u32_e32 v5, vcc, v25, v2, vcc
	v_and_or_b32 v18, v18, s33, 32
	v_mov_b32_e32 v20, v3
	v_mov_b32_e32 v21, v3
	v_readfirstlane_b32 s28, v6
	v_readfirstlane_b32 s29, v5
	s_nop 4
	global_store_dwordx4 v50, v[18:21], s[28:29]
	s_nop 0
	v_pk_mov_b32 v[20:21], s[10:11], s[10:11] op_sel:[0,1]
	v_pk_mov_b32 v[18:19], s[8:9], s[8:9] op_sel:[0,1]
	global_store_dwordx4 v50, v[18:21], s[28:29] offset:16
	global_store_dwordx4 v50, v[18:21], s[28:29] offset:32
	;; [unrolled: 1-line block ×3, first 2 shown]
	s_and_saveexec_b64 s[28:29], s[4:5]
	s_cbranch_execz .LBB5_1114
; %bb.1107:                             ;   in Loop: Header=BB5_278 Depth=1
	global_load_dwordx2 v[26:27], v3, s[34:35] offset:32 glc
	global_load_dwordx2 v[18:19], v3, s[34:35] offset:40
	v_mov_b32_e32 v24, s24
	v_mov_b32_e32 v25, s25
	s_waitcnt vmcnt(0)
	v_readfirstlane_b32 s30, v18
	v_readfirstlane_b32 s31, v19
	s_and_b64 s[30:31], s[30:31], s[24:25]
	s_mul_i32 s31, s31, 24
	s_mul_hi_u32 s52, s30, 24
	s_mul_i32 s30, s30, 24
	s_add_i32 s31, s52, s31
	v_mov_b32_e32 v2, s31
	v_add_co_u32_e32 v22, vcc, s30, v22
	v_addc_co_u32_e32 v23, vcc, v23, v2, vcc
	global_store_dwordx2 v[22:23], v[26:27], off
	buffer_wbl2
	s_waitcnt vmcnt(0)
	global_atomic_cmpswap_x2 v[20:21], v3, v[24:27], s[34:35] offset:32 glc
	s_waitcnt vmcnt(0)
	v_cmp_ne_u64_e32 vcc, v[20:21], v[26:27]
	s_and_saveexec_b64 s[30:31], vcc
	s_cbranch_execz .LBB5_1110
; %bb.1108:                             ;   in Loop: Header=BB5_278 Depth=1
	s_mov_b64 s[52:53], 0
.LBB5_1109:                             ;   Parent Loop BB5_278 Depth=1
                                        ; =>  This Inner Loop Header: Depth=2
	s_sleep 1
	global_store_dwordx2 v[22:23], v[20:21], off
	v_mov_b32_e32 v18, s24
	v_mov_b32_e32 v19, s25
	buffer_wbl2
	s_waitcnt vmcnt(0)
	global_atomic_cmpswap_x2 v[18:19], v3, v[18:21], s[34:35] offset:32 glc
	s_waitcnt vmcnt(0)
	v_cmp_eq_u64_e32 vcc, v[18:19], v[20:21]
	s_or_b64 s[52:53], vcc, s[52:53]
	v_pk_mov_b32 v[20:21], v[18:19], v[18:19] op_sel:[0,1]
	s_andn2_b64 exec, exec, s[52:53]
	s_cbranch_execnz .LBB5_1109
.LBB5_1110:                             ;   in Loop: Header=BB5_278 Depth=1
	s_or_b64 exec, exec, s[30:31]
	global_load_dwordx2 v[18:19], v3, s[34:35] offset:16
	s_mov_b64 s[52:53], exec
	v_mbcnt_lo_u32_b32 v2, s52, 0
	v_mbcnt_hi_u32_b32 v2, s53, v2
	v_cmp_eq_u32_e32 vcc, 0, v2
	s_and_saveexec_b64 s[30:31], vcc
	s_cbranch_execz .LBB5_1112
; %bb.1111:                             ;   in Loop: Header=BB5_278 Depth=1
	s_bcnt1_i32_b64 s52, s[52:53]
	v_mov_b32_e32 v2, s52
	buffer_wbl2
	s_waitcnt vmcnt(0)
	global_atomic_add_x2 v[18:19], v[2:3], off offset:8
.LBB5_1112:                             ;   in Loop: Header=BB5_278 Depth=1
	s_or_b64 exec, exec, s[30:31]
	s_waitcnt vmcnt(0)
	global_load_dwordx2 v[20:21], v[18:19], off offset:16
	s_waitcnt vmcnt(0)
	v_cmp_eq_u64_e32 vcc, 0, v[20:21]
	s_cbranch_vccnz .LBB5_1114
; %bb.1113:                             ;   in Loop: Header=BB5_278 Depth=1
	global_load_dword v2, v[18:19], off offset:24
	buffer_wbl2
	s_waitcnt vmcnt(0)
	global_store_dwordx2 v[20:21], v[2:3], off
	v_and_b32_e32 v2, 0xffffff, v2
	v_readfirstlane_b32 m0, v2
	s_sendmsg sendmsg(MSG_INTERRUPT)
.LBB5_1114:                             ;   in Loop: Header=BB5_278 Depth=1
	s_or_b64 exec, exec, s[28:29]
	v_add_co_u32_e32 v6, vcc, v6, v50
	v_addc_co_u32_e32 v7, vcc, 0, v5, vcc
	s_branch .LBB5_1118
.LBB5_1115:                             ;   in Loop: Header=BB5_1118 Depth=2
	s_or_b64 exec, exec, s[28:29]
	v_readfirstlane_b32 s28, v2
	s_cmp_eq_u32 s28, 0
	s_cbranch_scc1 .LBB5_1117
; %bb.1116:                             ;   in Loop: Header=BB5_1118 Depth=2
	s_sleep 1
	s_cbranch_execnz .LBB5_1118
	s_branch .LBB5_1120
.LBB5_1117:                             ;   in Loop: Header=BB5_278 Depth=1
	s_branch .LBB5_1120
.LBB5_1118:                             ;   Parent Loop BB5_278 Depth=1
                                        ; =>  This Inner Loop Header: Depth=2
	v_mov_b32_e32 v2, 1
	s_and_saveexec_b64 s[28:29], s[4:5]
	s_cbranch_execz .LBB5_1115
; %bb.1119:                             ;   in Loop: Header=BB5_1118 Depth=2
	global_load_dword v2, v[0:1], off offset:20 glc
	s_waitcnt vmcnt(0)
	buffer_invl2
	buffer_wbinvl1_vol
	v_and_b32_e32 v2, 1, v2
	s_branch .LBB5_1115
.LBB5_1120:                             ;   in Loop: Header=BB5_278 Depth=1
	global_load_dwordx2 v[20:21], v[6:7], off
	s_and_saveexec_b64 s[28:29], s[4:5]
	s_cbranch_execz .LBB5_1124
; %bb.1121:                             ;   in Loop: Header=BB5_278 Depth=1
	global_load_dwordx2 v[0:1], v3, s[34:35] offset:40
	global_load_dwordx2 v[6:7], v3, s[34:35] offset:24 glc
	global_load_dwordx2 v[18:19], v3, s[34:35]
	v_mov_b32_e32 v2, s25
	s_waitcnt vmcnt(2)
	v_add_co_u32_e32 v5, vcc, 1, v0
	v_addc_co_u32_e32 v25, vcc, 0, v1, vcc
	v_add_co_u32_e32 v22, vcc, s24, v5
	v_addc_co_u32_e32 v23, vcc, v25, v2, vcc
	v_cmp_eq_u64_e32 vcc, 0, v[22:23]
	v_cndmask_b32_e32 v23, v23, v25, vcc
	v_cndmask_b32_e32 v22, v22, v5, vcc
	v_and_b32_e32 v1, v23, v1
	v_and_b32_e32 v0, v22, v0
	v_mul_lo_u32 v1, v1, 24
	v_mul_hi_u32 v2, v0, 24
	v_mul_lo_u32 v0, v0, 24
	v_add_u32_e32 v1, v2, v1
	s_waitcnt vmcnt(0)
	v_add_co_u32_e32 v0, vcc, v18, v0
	v_addc_co_u32_e32 v1, vcc, v19, v1, vcc
	v_mov_b32_e32 v24, v6
	global_store_dwordx2 v[0:1], v[6:7], off
	v_mov_b32_e32 v25, v7
	buffer_wbl2
	s_waitcnt vmcnt(0)
	global_atomic_cmpswap_x2 v[24:25], v3, v[22:25], s[34:35] offset:24 glc
	s_waitcnt vmcnt(0)
	v_cmp_ne_u64_e32 vcc, v[24:25], v[6:7]
	s_and_b64 exec, exec, vcc
	s_cbranch_execz .LBB5_1124
; %bb.1122:                             ;   in Loop: Header=BB5_278 Depth=1
	s_mov_b64 s[4:5], 0
.LBB5_1123:                             ;   Parent Loop BB5_278 Depth=1
                                        ; =>  This Inner Loop Header: Depth=2
	s_sleep 1
	global_store_dwordx2 v[0:1], v[24:25], off
	buffer_wbl2
	s_waitcnt vmcnt(0)
	global_atomic_cmpswap_x2 v[6:7], v3, v[22:25], s[34:35] offset:24 glc
	s_waitcnt vmcnt(0)
	v_cmp_eq_u64_e32 vcc, v[6:7], v[24:25]
	s_or_b64 s[4:5], vcc, s[4:5]
	v_pk_mov_b32 v[24:25], v[6:7], v[6:7] op_sel:[0,1]
	s_andn2_b64 exec, exec, s[4:5]
	s_cbranch_execnz .LBB5_1123
.LBB5_1124:                             ;   in Loop: Header=BB5_278 Depth=1
	s_or_b64 exec, exec, s[28:29]
.LBB5_1125:                             ;   in Loop: Header=BB5_278 Depth=1
	v_readfirstlane_b32 s4, v51
	v_cmp_eq_u32_e64 s[4:5], s4, v51
	s_waitcnt vmcnt(0)
	v_pk_mov_b32 v[0:1], 0, 0
	s_and_saveexec_b64 s[24:25], s[4:5]
	s_cbranch_execz .LBB5_1131
; %bb.1126:                             ;   in Loop: Header=BB5_278 Depth=1
	global_load_dwordx2 v[24:25], v3, s[34:35] offset:24 glc
	s_waitcnt vmcnt(0)
	buffer_invl2
	buffer_wbinvl1_vol
	global_load_dwordx2 v[0:1], v3, s[34:35] offset:40
	global_load_dwordx2 v[6:7], v3, s[34:35]
	s_waitcnt vmcnt(1)
	v_and_b32_e32 v0, v0, v24
	v_and_b32_e32 v1, v1, v25
	v_mul_lo_u32 v1, v1, 24
	v_mul_hi_u32 v2, v0, 24
	v_mul_lo_u32 v0, v0, 24
	v_add_u32_e32 v1, v2, v1
	s_waitcnt vmcnt(0)
	v_add_co_u32_e32 v0, vcc, v6, v0
	v_addc_co_u32_e32 v1, vcc, v7, v1, vcc
	global_load_dwordx2 v[22:23], v[0:1], off glc
	s_waitcnt vmcnt(0)
	global_atomic_cmpswap_x2 v[0:1], v3, v[22:25], s[34:35] offset:24 glc
	s_waitcnt vmcnt(0)
	buffer_invl2
	buffer_wbinvl1_vol
	v_cmp_ne_u64_e32 vcc, v[0:1], v[24:25]
	s_and_saveexec_b64 s[28:29], vcc
	s_cbranch_execz .LBB5_1130
; %bb.1127:                             ;   in Loop: Header=BB5_278 Depth=1
	s_mov_b64 s[30:31], 0
.LBB5_1128:                             ;   Parent Loop BB5_278 Depth=1
                                        ; =>  This Inner Loop Header: Depth=2
	s_sleep 1
	global_load_dwordx2 v[6:7], v3, s[34:35] offset:40
	global_load_dwordx2 v[18:19], v3, s[34:35]
	v_pk_mov_b32 v[24:25], v[0:1], v[0:1] op_sel:[0,1]
	s_waitcnt vmcnt(1)
	v_and_b32_e32 v0, v6, v24
	s_waitcnt vmcnt(0)
	v_mad_u64_u32 v[0:1], s[52:53], v0, 24, v[18:19]
	v_and_b32_e32 v5, v7, v25
	v_mov_b32_e32 v2, v1
	v_mad_u64_u32 v[6:7], s[52:53], v5, 24, v[2:3]
	v_mov_b32_e32 v1, v6
	global_load_dwordx2 v[22:23], v[0:1], off glc
	s_waitcnt vmcnt(0)
	global_atomic_cmpswap_x2 v[0:1], v3, v[22:25], s[34:35] offset:24 glc
	s_waitcnt vmcnt(0)
	buffer_invl2
	buffer_wbinvl1_vol
	v_cmp_eq_u64_e32 vcc, v[0:1], v[24:25]
	s_or_b64 s[30:31], vcc, s[30:31]
	s_andn2_b64 exec, exec, s[30:31]
	s_cbranch_execnz .LBB5_1128
; %bb.1129:                             ;   in Loop: Header=BB5_278 Depth=1
	s_or_b64 exec, exec, s[30:31]
.LBB5_1130:                             ;   in Loop: Header=BB5_278 Depth=1
	s_or_b64 exec, exec, s[28:29]
.LBB5_1131:                             ;   in Loop: Header=BB5_278 Depth=1
	s_or_b64 exec, exec, s[24:25]
	global_load_dwordx2 v[6:7], v3, s[34:35] offset:40
	global_load_dwordx4 v[24:27], v3, s[34:35]
	v_readfirstlane_b32 s24, v0
	v_readfirstlane_b32 s25, v1
	s_mov_b64 s[28:29], exec
	s_waitcnt vmcnt(1)
	v_readfirstlane_b32 s30, v6
	v_readfirstlane_b32 s31, v7
	s_and_b64 s[30:31], s[24:25], s[30:31]
	s_mul_i32 s52, s31, 24
	s_mul_hi_u32 s53, s30, 24
	s_mul_i32 s54, s30, 24
	s_add_i32 s52, s53, s52
	v_mov_b32_e32 v1, s52
	s_waitcnt vmcnt(0)
	v_add_co_u32_e32 v0, vcc, s54, v24
	v_addc_co_u32_e32 v1, vcc, v25, v1, vcc
	s_and_saveexec_b64 s[52:53], s[4:5]
	s_cbranch_execz .LBB5_1133
; %bb.1132:                             ;   in Loop: Header=BB5_278 Depth=1
	v_pk_mov_b32 v[6:7], s[28:29], s[28:29] op_sel:[0,1]
	global_store_dwordx4 v[0:1], v[6:9], off offset:8
.LBB5_1133:                             ;   in Loop: Header=BB5_278 Depth=1
	s_or_b64 exec, exec, s[52:53]
	s_lshl_b64 s[28:29], s[30:31], 12
	v_mov_b32_e32 v5, s29
	v_add_co_u32_e32 v2, vcc, s28, v26
	v_addc_co_u32_e32 v5, vcc, v27, v5, vcc
	s_ashr_i32 s28, s61, 1
	v_and_or_b32 v20, v20, s60, 34
	v_mov_b32_e32 v22, s28
	v_mov_b32_e32 v23, v3
	v_readfirstlane_b32 s28, v2
	v_readfirstlane_b32 s29, v5
	s_nop 4
	global_store_dwordx4 v50, v[20:23], s[28:29]
	s_nop 0
	v_pk_mov_b32 v[20:21], s[10:11], s[10:11] op_sel:[0,1]
	v_pk_mov_b32 v[18:19], s[8:9], s[8:9] op_sel:[0,1]
	global_store_dwordx4 v50, v[18:21], s[28:29] offset:16
	global_store_dwordx4 v50, v[18:21], s[28:29] offset:32
	;; [unrolled: 1-line block ×3, first 2 shown]
	s_and_saveexec_b64 s[28:29], s[4:5]
	s_cbranch_execz .LBB5_1141
; %bb.1134:                             ;   in Loop: Header=BB5_278 Depth=1
	global_load_dwordx2 v[22:23], v3, s[34:35] offset:32 glc
	global_load_dwordx2 v[6:7], v3, s[34:35] offset:40
	v_mov_b32_e32 v20, s24
	v_mov_b32_e32 v21, s25
	s_waitcnt vmcnt(0)
	v_readfirstlane_b32 s30, v6
	v_readfirstlane_b32 s31, v7
	s_and_b64 s[30:31], s[30:31], s[24:25]
	s_mul_i32 s31, s31, 24
	s_mul_hi_u32 s52, s30, 24
	s_mul_i32 s30, s30, 24
	s_add_i32 s31, s52, s31
	v_mov_b32_e32 v2, s31
	v_add_co_u32_e32 v6, vcc, s30, v24
	v_addc_co_u32_e32 v7, vcc, v25, v2, vcc
	global_store_dwordx2 v[6:7], v[22:23], off
	buffer_wbl2
	s_waitcnt vmcnt(0)
	global_atomic_cmpswap_x2 v[20:21], v3, v[20:23], s[34:35] offset:32 glc
	s_waitcnt vmcnt(0)
	v_cmp_ne_u64_e32 vcc, v[20:21], v[22:23]
	s_and_saveexec_b64 s[30:31], vcc
	s_cbranch_execz .LBB5_1137
; %bb.1135:                             ;   in Loop: Header=BB5_278 Depth=1
	s_mov_b64 s[52:53], 0
.LBB5_1136:                             ;   Parent Loop BB5_278 Depth=1
                                        ; =>  This Inner Loop Header: Depth=2
	s_sleep 1
	global_store_dwordx2 v[6:7], v[20:21], off
	v_mov_b32_e32 v18, s24
	v_mov_b32_e32 v19, s25
	buffer_wbl2
	s_waitcnt vmcnt(0)
	global_atomic_cmpswap_x2 v[18:19], v3, v[18:21], s[34:35] offset:32 glc
	s_waitcnt vmcnt(0)
	v_cmp_eq_u64_e32 vcc, v[18:19], v[20:21]
	s_or_b64 s[52:53], vcc, s[52:53]
	v_pk_mov_b32 v[20:21], v[18:19], v[18:19] op_sel:[0,1]
	s_andn2_b64 exec, exec, s[52:53]
	s_cbranch_execnz .LBB5_1136
.LBB5_1137:                             ;   in Loop: Header=BB5_278 Depth=1
	s_or_b64 exec, exec, s[30:31]
	global_load_dwordx2 v[6:7], v3, s[34:35] offset:16
	s_mov_b64 s[52:53], exec
	v_mbcnt_lo_u32_b32 v2, s52, 0
	v_mbcnt_hi_u32_b32 v2, s53, v2
	v_cmp_eq_u32_e32 vcc, 0, v2
	s_and_saveexec_b64 s[30:31], vcc
	s_cbranch_execz .LBB5_1139
; %bb.1138:                             ;   in Loop: Header=BB5_278 Depth=1
	s_bcnt1_i32_b64 s52, s[52:53]
	v_mov_b32_e32 v2, s52
	buffer_wbl2
	s_waitcnt vmcnt(0)
	global_atomic_add_x2 v[6:7], v[2:3], off offset:8
.LBB5_1139:                             ;   in Loop: Header=BB5_278 Depth=1
	s_or_b64 exec, exec, s[30:31]
	s_waitcnt vmcnt(0)
	global_load_dwordx2 v[18:19], v[6:7], off offset:16
	s_waitcnt vmcnt(0)
	v_cmp_eq_u64_e32 vcc, 0, v[18:19]
	s_cbranch_vccnz .LBB5_1141
; %bb.1140:                             ;   in Loop: Header=BB5_278 Depth=1
	global_load_dword v2, v[6:7], off offset:24
	buffer_wbl2
	s_waitcnt vmcnt(0)
	global_store_dwordx2 v[18:19], v[2:3], off
	v_and_b32_e32 v2, 0xffffff, v2
	v_readfirstlane_b32 m0, v2
	s_sendmsg sendmsg(MSG_INTERRUPT)
.LBB5_1141:                             ;   in Loop: Header=BB5_278 Depth=1
	s_or_b64 exec, exec, s[28:29]
	s_branch .LBB5_1145
.LBB5_1142:                             ;   in Loop: Header=BB5_1145 Depth=2
	s_or_b64 exec, exec, s[28:29]
	v_readfirstlane_b32 s28, v2
	s_cmp_eq_u32 s28, 0
	s_cbranch_scc1 .LBB5_1144
; %bb.1143:                             ;   in Loop: Header=BB5_1145 Depth=2
	s_sleep 1
	s_cbranch_execnz .LBB5_1145
	s_branch .LBB5_1147
.LBB5_1144:                             ;   in Loop: Header=BB5_278 Depth=1
	s_branch .LBB5_1147
.LBB5_1145:                             ;   Parent Loop BB5_278 Depth=1
                                        ; =>  This Inner Loop Header: Depth=2
	v_mov_b32_e32 v2, 1
	s_and_saveexec_b64 s[28:29], s[4:5]
	s_cbranch_execz .LBB5_1142
; %bb.1146:                             ;   in Loop: Header=BB5_1145 Depth=2
	global_load_dword v2, v[0:1], off offset:20 glc
	s_waitcnt vmcnt(0)
	buffer_invl2
	buffer_wbinvl1_vol
	v_and_b32_e32 v2, 1, v2
	s_branch .LBB5_1142
.LBB5_1147:                             ;   in Loop: Header=BB5_278 Depth=1
	s_and_saveexec_b64 s[28:29], s[4:5]
	s_cbranch_execz .LBB5_1151
; %bb.1148:                             ;   in Loop: Header=BB5_278 Depth=1
	global_load_dwordx2 v[0:1], v3, s[34:35] offset:40
	global_load_dwordx2 v[6:7], v3, s[34:35] offset:24 glc
	global_load_dwordx2 v[22:23], v3, s[34:35]
	v_mov_b32_e32 v2, s25
	s_waitcnt vmcnt(2)
	v_add_co_u32_e32 v5, vcc, 1, v0
	v_addc_co_u32_e32 v21, vcc, 0, v1, vcc
	v_add_co_u32_e32 v18, vcc, s24, v5
	v_addc_co_u32_e32 v19, vcc, v21, v2, vcc
	v_cmp_eq_u64_e32 vcc, 0, v[18:19]
	v_cndmask_b32_e32 v19, v19, v21, vcc
	v_cndmask_b32_e32 v18, v18, v5, vcc
	v_and_b32_e32 v1, v19, v1
	v_and_b32_e32 v0, v18, v0
	v_mul_lo_u32 v1, v1, 24
	v_mul_hi_u32 v2, v0, 24
	v_mul_lo_u32 v0, v0, 24
	v_add_u32_e32 v1, v2, v1
	s_waitcnt vmcnt(0)
	v_add_co_u32_e32 v0, vcc, v22, v0
	v_addc_co_u32_e32 v1, vcc, v23, v1, vcc
	v_mov_b32_e32 v20, v6
	global_store_dwordx2 v[0:1], v[6:7], off
	v_mov_b32_e32 v21, v7
	buffer_wbl2
	s_waitcnt vmcnt(0)
	global_atomic_cmpswap_x2 v[20:21], v3, v[18:21], s[34:35] offset:24 glc
	s_waitcnt vmcnt(0)
	v_cmp_ne_u64_e32 vcc, v[20:21], v[6:7]
	s_and_b64 exec, exec, vcc
	s_cbranch_execz .LBB5_1151
; %bb.1149:                             ;   in Loop: Header=BB5_278 Depth=1
	s_mov_b64 s[4:5], 0
.LBB5_1150:                             ;   Parent Loop BB5_278 Depth=1
                                        ; =>  This Inner Loop Header: Depth=2
	s_sleep 1
	global_store_dwordx2 v[0:1], v[20:21], off
	buffer_wbl2
	s_waitcnt vmcnt(0)
	global_atomic_cmpswap_x2 v[6:7], v3, v[18:21], s[34:35] offset:24 glc
	s_waitcnt vmcnt(0)
	v_cmp_eq_u64_e32 vcc, v[6:7], v[20:21]
	s_or_b64 s[4:5], vcc, s[4:5]
	v_pk_mov_b32 v[20:21], v[6:7], v[6:7] op_sel:[0,1]
	s_andn2_b64 exec, exec, s[4:5]
	s_cbranch_execnz .LBB5_1150
.LBB5_1151:                             ;   in Loop: Header=BB5_278 Depth=1
	s_or_b64 exec, exec, s[28:29]
	s_branch .LBB5_1291
.LBB5_1152:                             ;   in Loop: Header=BB5_278 Depth=1
	v_readfirstlane_b32 s4, v51
	v_cmp_eq_u32_e64 s[4:5], s4, v51
	v_pk_mov_b32 v[0:1], 0, 0
	s_and_saveexec_b64 s[24:25], s[4:5]
	s_cbranch_execz .LBB5_1158
; %bb.1153:                             ;   in Loop: Header=BB5_278 Depth=1
	global_load_dwordx2 v[20:21], v3, s[34:35] offset:24 glc
	s_waitcnt vmcnt(0)
	buffer_invl2
	buffer_wbinvl1_vol
	global_load_dwordx2 v[0:1], v3, s[34:35] offset:40
	global_load_dwordx2 v[6:7], v3, s[34:35]
	s_waitcnt vmcnt(1)
	v_and_b32_e32 v0, v0, v20
	v_and_b32_e32 v1, v1, v21
	v_mul_lo_u32 v1, v1, 24
	v_mul_hi_u32 v2, v0, 24
	v_mul_lo_u32 v0, v0, 24
	v_add_u32_e32 v1, v2, v1
	s_waitcnt vmcnt(0)
	v_add_co_u32_e32 v0, vcc, v6, v0
	v_addc_co_u32_e32 v1, vcc, v7, v1, vcc
	global_load_dwordx2 v[18:19], v[0:1], off glc
	s_waitcnt vmcnt(0)
	global_atomic_cmpswap_x2 v[0:1], v3, v[18:21], s[34:35] offset:24 glc
	s_waitcnt vmcnt(0)
	buffer_invl2
	buffer_wbinvl1_vol
	v_cmp_ne_u64_e32 vcc, v[0:1], v[20:21]
	s_and_saveexec_b64 s[28:29], vcc
	s_cbranch_execz .LBB5_1157
; %bb.1154:                             ;   in Loop: Header=BB5_278 Depth=1
	s_mov_b64 s[30:31], 0
.LBB5_1155:                             ;   Parent Loop BB5_278 Depth=1
                                        ; =>  This Inner Loop Header: Depth=2
	s_sleep 1
	global_load_dwordx2 v[6:7], v3, s[34:35] offset:40
	global_load_dwordx2 v[18:19], v3, s[34:35]
	v_pk_mov_b32 v[20:21], v[0:1], v[0:1] op_sel:[0,1]
	s_waitcnt vmcnt(1)
	v_and_b32_e32 v0, v6, v20
	s_waitcnt vmcnt(0)
	v_mad_u64_u32 v[0:1], s[52:53], v0, 24, v[18:19]
	v_and_b32_e32 v5, v7, v21
	v_mov_b32_e32 v2, v1
	v_mad_u64_u32 v[6:7], s[52:53], v5, 24, v[2:3]
	v_mov_b32_e32 v1, v6
	global_load_dwordx2 v[18:19], v[0:1], off glc
	s_waitcnt vmcnt(0)
	global_atomic_cmpswap_x2 v[0:1], v3, v[18:21], s[34:35] offset:24 glc
	s_waitcnt vmcnt(0)
	buffer_invl2
	buffer_wbinvl1_vol
	v_cmp_eq_u64_e32 vcc, v[0:1], v[20:21]
	s_or_b64 s[30:31], vcc, s[30:31]
	s_andn2_b64 exec, exec, s[30:31]
	s_cbranch_execnz .LBB5_1155
; %bb.1156:                             ;   in Loop: Header=BB5_278 Depth=1
	s_or_b64 exec, exec, s[30:31]
.LBB5_1157:                             ;   in Loop: Header=BB5_278 Depth=1
	s_or_b64 exec, exec, s[28:29]
.LBB5_1158:                             ;   in Loop: Header=BB5_278 Depth=1
	s_or_b64 exec, exec, s[24:25]
	global_load_dwordx2 v[6:7], v3, s[34:35] offset:40
	global_load_dwordx4 v[18:21], v3, s[34:35]
	v_readfirstlane_b32 s24, v0
	v_readfirstlane_b32 s25, v1
	s_mov_b64 s[28:29], exec
	s_waitcnt vmcnt(1)
	v_readfirstlane_b32 s30, v6
	v_readfirstlane_b32 s31, v7
	s_and_b64 s[30:31], s[24:25], s[30:31]
	s_mul_i32 s52, s31, 24
	s_mul_hi_u32 s53, s30, 24
	s_mul_i32 s54, s30, 24
	s_add_i32 s52, s53, s52
	v_mov_b32_e32 v1, s52
	s_waitcnt vmcnt(0)
	v_add_co_u32_e32 v0, vcc, s54, v18
	v_addc_co_u32_e32 v1, vcc, v19, v1, vcc
	s_and_saveexec_b64 s[52:53], s[4:5]
	s_cbranch_execz .LBB5_1160
; %bb.1159:                             ;   in Loop: Header=BB5_278 Depth=1
	v_pk_mov_b32 v[6:7], s[28:29], s[28:29] op_sel:[0,1]
	global_store_dwordx4 v[0:1], v[6:9], off offset:8
.LBB5_1160:                             ;   in Loop: Header=BB5_278 Depth=1
	s_or_b64 exec, exec, s[52:53]
	s_lshl_b64 s[28:29], s[30:31], 12
	v_mov_b32_e32 v2, s29
	v_add_co_u32_e32 v22, vcc, s28, v20
	v_addc_co_u32_e32 v23, vcc, v21, v2, vcc
	v_pk_mov_b32 v[26:27], s[10:11], s[10:11] op_sel:[0,1]
	v_mov_b32_e32 v5, v3
	v_mov_b32_e32 v6, v3
	;; [unrolled: 1-line block ×3, first 2 shown]
	v_readfirstlane_b32 s28, v22
	v_readfirstlane_b32 s29, v23
	v_pk_mov_b32 v[24:25], s[8:9], s[8:9] op_sel:[0,1]
	s_nop 3
	global_store_dwordx4 v50, v[4:7], s[28:29]
	global_store_dwordx4 v50, v[24:27], s[28:29] offset:16
	global_store_dwordx4 v50, v[24:27], s[28:29] offset:32
	;; [unrolled: 1-line block ×3, first 2 shown]
	s_and_saveexec_b64 s[28:29], s[4:5]
	s_cbranch_execz .LBB5_1168
; %bb.1161:                             ;   in Loop: Header=BB5_278 Depth=1
	global_load_dwordx2 v[26:27], v3, s[34:35] offset:32 glc
	global_load_dwordx2 v[6:7], v3, s[34:35] offset:40
	v_mov_b32_e32 v24, s24
	v_mov_b32_e32 v25, s25
	s_waitcnt vmcnt(0)
	v_readfirstlane_b32 s30, v6
	v_readfirstlane_b32 s31, v7
	s_and_b64 s[30:31], s[30:31], s[24:25]
	s_mul_i32 s31, s31, 24
	s_mul_hi_u32 s52, s30, 24
	s_mul_i32 s30, s30, 24
	s_add_i32 s31, s52, s31
	v_mov_b32_e32 v2, s31
	v_add_co_u32_e32 v6, vcc, s30, v18
	v_addc_co_u32_e32 v7, vcc, v19, v2, vcc
	global_store_dwordx2 v[6:7], v[26:27], off
	buffer_wbl2
	s_waitcnt vmcnt(0)
	global_atomic_cmpswap_x2 v[20:21], v3, v[24:27], s[34:35] offset:32 glc
	s_waitcnt vmcnt(0)
	v_cmp_ne_u64_e32 vcc, v[20:21], v[26:27]
	s_and_saveexec_b64 s[30:31], vcc
	s_cbranch_execz .LBB5_1164
; %bb.1162:                             ;   in Loop: Header=BB5_278 Depth=1
	s_mov_b64 s[52:53], 0
.LBB5_1163:                             ;   Parent Loop BB5_278 Depth=1
                                        ; =>  This Inner Loop Header: Depth=2
	s_sleep 1
	global_store_dwordx2 v[6:7], v[20:21], off
	v_mov_b32_e32 v18, s24
	v_mov_b32_e32 v19, s25
	buffer_wbl2
	s_waitcnt vmcnt(0)
	global_atomic_cmpswap_x2 v[18:19], v3, v[18:21], s[34:35] offset:32 glc
	s_waitcnt vmcnt(0)
	v_cmp_eq_u64_e32 vcc, v[18:19], v[20:21]
	s_or_b64 s[52:53], vcc, s[52:53]
	v_pk_mov_b32 v[20:21], v[18:19], v[18:19] op_sel:[0,1]
	s_andn2_b64 exec, exec, s[52:53]
	s_cbranch_execnz .LBB5_1163
.LBB5_1164:                             ;   in Loop: Header=BB5_278 Depth=1
	s_or_b64 exec, exec, s[30:31]
	global_load_dwordx2 v[6:7], v3, s[34:35] offset:16
	s_mov_b64 s[52:53], exec
	v_mbcnt_lo_u32_b32 v2, s52, 0
	v_mbcnt_hi_u32_b32 v2, s53, v2
	v_cmp_eq_u32_e32 vcc, 0, v2
	s_and_saveexec_b64 s[30:31], vcc
	s_cbranch_execz .LBB5_1166
; %bb.1165:                             ;   in Loop: Header=BB5_278 Depth=1
	s_bcnt1_i32_b64 s52, s[52:53]
	v_mov_b32_e32 v2, s52
	buffer_wbl2
	s_waitcnt vmcnt(0)
	global_atomic_add_x2 v[6:7], v[2:3], off offset:8
.LBB5_1166:                             ;   in Loop: Header=BB5_278 Depth=1
	s_or_b64 exec, exec, s[30:31]
	s_waitcnt vmcnt(0)
	global_load_dwordx2 v[18:19], v[6:7], off offset:16
	s_waitcnt vmcnt(0)
	v_cmp_eq_u64_e32 vcc, 0, v[18:19]
	s_cbranch_vccnz .LBB5_1168
; %bb.1167:                             ;   in Loop: Header=BB5_278 Depth=1
	global_load_dword v2, v[6:7], off offset:24
	buffer_wbl2
	s_waitcnt vmcnt(0)
	global_store_dwordx2 v[18:19], v[2:3], off
	v_and_b32_e32 v2, 0xffffff, v2
	v_readfirstlane_b32 m0, v2
	s_sendmsg sendmsg(MSG_INTERRUPT)
.LBB5_1168:                             ;   in Loop: Header=BB5_278 Depth=1
	s_or_b64 exec, exec, s[28:29]
	v_add_co_u32_e32 v6, vcc, v22, v50
	v_addc_co_u32_e32 v7, vcc, 0, v23, vcc
	s_branch .LBB5_1172
.LBB5_1169:                             ;   in Loop: Header=BB5_1172 Depth=2
	s_or_b64 exec, exec, s[28:29]
	v_readfirstlane_b32 s28, v2
	s_cmp_eq_u32 s28, 0
	s_cbranch_scc1 .LBB5_1171
; %bb.1170:                             ;   in Loop: Header=BB5_1172 Depth=2
	s_sleep 1
	s_cbranch_execnz .LBB5_1172
	s_branch .LBB5_1174
.LBB5_1171:                             ;   in Loop: Header=BB5_278 Depth=1
	s_branch .LBB5_1174
.LBB5_1172:                             ;   Parent Loop BB5_278 Depth=1
                                        ; =>  This Inner Loop Header: Depth=2
	v_mov_b32_e32 v2, 1
	s_and_saveexec_b64 s[28:29], s[4:5]
	s_cbranch_execz .LBB5_1169
; %bb.1173:                             ;   in Loop: Header=BB5_1172 Depth=2
	global_load_dword v2, v[0:1], off offset:20 glc
	s_waitcnt vmcnt(0)
	buffer_invl2
	buffer_wbinvl1_vol
	v_and_b32_e32 v2, 1, v2
	s_branch .LBB5_1169
.LBB5_1174:                             ;   in Loop: Header=BB5_278 Depth=1
	global_load_dwordx2 v[0:1], v[6:7], off
	s_and_saveexec_b64 s[28:29], s[4:5]
	s_cbranch_execz .LBB5_1178
; %bb.1175:                             ;   in Loop: Header=BB5_278 Depth=1
	global_load_dwordx2 v[6:7], v3, s[34:35] offset:40
	global_load_dwordx2 v[22:23], v3, s[34:35] offset:24 glc
	global_load_dwordx2 v[24:25], v3, s[34:35]
	v_mov_b32_e32 v2, s25
	s_waitcnt vmcnt(2)
	v_add_co_u32_e32 v5, vcc, 1, v6
	v_addc_co_u32_e32 v21, vcc, 0, v7, vcc
	v_add_co_u32_e32 v18, vcc, s24, v5
	v_addc_co_u32_e32 v19, vcc, v21, v2, vcc
	v_cmp_eq_u64_e32 vcc, 0, v[18:19]
	v_cndmask_b32_e32 v19, v19, v21, vcc
	v_cndmask_b32_e32 v18, v18, v5, vcc
	v_and_b32_e32 v2, v19, v7
	v_and_b32_e32 v5, v18, v6
	v_mul_lo_u32 v2, v2, 24
	v_mul_hi_u32 v6, v5, 24
	v_mul_lo_u32 v5, v5, 24
	v_add_u32_e32 v2, v6, v2
	s_waitcnt vmcnt(0)
	v_add_co_u32_e32 v6, vcc, v24, v5
	v_addc_co_u32_e32 v7, vcc, v25, v2, vcc
	v_mov_b32_e32 v20, v22
	global_store_dwordx2 v[6:7], v[22:23], off
	v_mov_b32_e32 v21, v23
	buffer_wbl2
	s_waitcnt vmcnt(0)
	global_atomic_cmpswap_x2 v[20:21], v3, v[18:21], s[34:35] offset:24 glc
	s_waitcnt vmcnt(0)
	v_cmp_ne_u64_e32 vcc, v[20:21], v[22:23]
	s_and_b64 exec, exec, vcc
	s_cbranch_execz .LBB5_1178
; %bb.1176:                             ;   in Loop: Header=BB5_278 Depth=1
	s_mov_b64 s[4:5], 0
.LBB5_1177:                             ;   Parent Loop BB5_278 Depth=1
                                        ; =>  This Inner Loop Header: Depth=2
	s_sleep 1
	global_store_dwordx2 v[6:7], v[20:21], off
	buffer_wbl2
	s_waitcnt vmcnt(0)
	global_atomic_cmpswap_x2 v[22:23], v3, v[18:21], s[34:35] offset:24 glc
	s_waitcnt vmcnt(0)
	v_cmp_eq_u64_e32 vcc, v[22:23], v[20:21]
	s_or_b64 s[4:5], vcc, s[4:5]
	v_pk_mov_b32 v[20:21], v[22:23], v[22:23] op_sel:[0,1]
	s_andn2_b64 exec, exec, s[4:5]
	s_cbranch_execnz .LBB5_1177
.LBB5_1178:                             ;   in Loop: Header=BB5_278 Depth=1
	s_or_b64 exec, exec, s[28:29]
	s_and_b64 vcc, exec, s[14:15]
	s_cbranch_vccz .LBB5_1263
; %bb.1179:                             ;   in Loop: Header=BB5_278 Depth=1
	s_waitcnt vmcnt(0)
	v_and_b32_e32 v18, -3, v0
	v_mov_b32_e32 v19, v1
	s_mov_b64 s[28:29], 2
	s_getpc_b64 s[24:25]
	s_add_u32 s24, s24, .str.6@rel32@lo+4
	s_addc_u32 s25, s25, .str.6@rel32@hi+12
	s_branch .LBB5_1181
.LBB5_1180:                             ;   in Loop: Header=BB5_1181 Depth=2
	s_or_b64 exec, exec, s[54:55]
	s_sub_u32 s28, s28, s30
	s_subb_u32 s29, s29, s31
	s_add_u32 s24, s24, s30
	s_addc_u32 s25, s25, s31
	s_cmp_eq_u64 s[28:29], 0
	s_cbranch_scc1 .LBB5_1262
.LBB5_1181:                             ;   Parent Loop BB5_278 Depth=1
                                        ; =>  This Loop Header: Depth=2
                                        ;       Child Loop BB5_1184 Depth 3
                                        ;       Child Loop BB5_1191 Depth 3
	;; [unrolled: 1-line block ×11, first 2 shown]
	v_cmp_lt_u64_e64 s[4:5], s[28:29], 56
	s_and_b64 s[4:5], s[4:5], exec
	v_cmp_gt_u64_e64 s[4:5], s[28:29], 7
	s_cselect_b32 s31, s29, 0
	s_cselect_b32 s30, s28, 56
	s_and_b64 vcc, exec, s[4:5]
	s_cbranch_vccnz .LBB5_1186
; %bb.1182:                             ;   in Loop: Header=BB5_1181 Depth=2
	s_mov_b64 s[4:5], 0
	s_cmp_eq_u64 s[28:29], 0
	s_waitcnt vmcnt(0)
	v_pk_mov_b32 v[20:21], 0, 0
	s_cbranch_scc1 .LBB5_1185
; %bb.1183:                             ;   in Loop: Header=BB5_1181 Depth=2
	s_lshl_b64 s[52:53], s[30:31], 3
	s_mov_b64 s[54:55], 0
	v_pk_mov_b32 v[20:21], 0, 0
	s_mov_b64 s[56:57], s[24:25]
.LBB5_1184:                             ;   Parent Loop BB5_278 Depth=1
                                        ;     Parent Loop BB5_1181 Depth=2
                                        ; =>    This Inner Loop Header: Depth=3
	global_load_ubyte v2, v3, s[56:57]
	s_waitcnt vmcnt(0)
	v_and_b32_e32 v2, 0xffff, v2
	v_lshlrev_b64 v[6:7], s54, v[2:3]
	s_add_u32 s54, s54, 8
	s_addc_u32 s55, s55, 0
	s_add_u32 s56, s56, 1
	s_addc_u32 s57, s57, 0
	v_or_b32_e32 v20, v6, v20
	s_cmp_lg_u32 s52, s54
	v_or_b32_e32 v21, v7, v21
	s_cbranch_scc1 .LBB5_1184
.LBB5_1185:                             ;   in Loop: Header=BB5_1181 Depth=2
	s_mov_b32 s56, 0
	s_andn2_b64 vcc, exec, s[4:5]
	s_mov_b64 s[4:5], s[24:25]
	s_cbranch_vccz .LBB5_1187
	s_branch .LBB5_1188
.LBB5_1186:                             ;   in Loop: Header=BB5_1181 Depth=2
                                        ; implicit-def: $sgpr56
	s_mov_b64 s[4:5], s[24:25]
.LBB5_1187:                             ;   in Loop: Header=BB5_1181 Depth=2
	global_load_dwordx2 v[20:21], v3, s[24:25]
	s_add_i32 s56, s30, -8
	s_add_u32 s4, s24, 8
	s_addc_u32 s5, s25, 0
.LBB5_1188:                             ;   in Loop: Header=BB5_1181 Depth=2
	s_cmp_gt_u32 s56, 7
	s_cbranch_scc1 .LBB5_1192
; %bb.1189:                             ;   in Loop: Header=BB5_1181 Depth=2
	s_cmp_eq_u32 s56, 0
	s_cbranch_scc1 .LBB5_1193
; %bb.1190:                             ;   in Loop: Header=BB5_1181 Depth=2
	s_mov_b64 s[52:53], 0
	v_pk_mov_b32 v[22:23], 0, 0
	s_mov_b64 s[54:55], 0
.LBB5_1191:                             ;   Parent Loop BB5_278 Depth=1
                                        ;     Parent Loop BB5_1181 Depth=2
                                        ; =>    This Inner Loop Header: Depth=3
	s_add_u32 s58, s4, s54
	s_addc_u32 s59, s5, s55
	global_load_ubyte v2, v3, s[58:59]
	s_add_u32 s54, s54, 1
	s_addc_u32 s55, s55, 0
	s_waitcnt vmcnt(0)
	v_and_b32_e32 v2, 0xffff, v2
	v_lshlrev_b64 v[6:7], s52, v[2:3]
	s_add_u32 s52, s52, 8
	s_addc_u32 s53, s53, 0
	v_or_b32_e32 v22, v6, v22
	s_cmp_lg_u32 s56, s54
	v_or_b32_e32 v23, v7, v23
	s_cbranch_scc1 .LBB5_1191
	s_branch .LBB5_1194
.LBB5_1192:                             ;   in Loop: Header=BB5_1181 Depth=2
                                        ; implicit-def: $vgpr22_vgpr23
                                        ; implicit-def: $sgpr57
	s_branch .LBB5_1195
.LBB5_1193:                             ;   in Loop: Header=BB5_1181 Depth=2
	v_pk_mov_b32 v[22:23], 0, 0
.LBB5_1194:                             ;   in Loop: Header=BB5_1181 Depth=2
	s_mov_b32 s57, 0
	s_cbranch_execnz .LBB5_1196
.LBB5_1195:                             ;   in Loop: Header=BB5_1181 Depth=2
	global_load_dwordx2 v[22:23], v3, s[4:5]
	s_add_i32 s57, s56, -8
	s_add_u32 s4, s4, 8
	s_addc_u32 s5, s5, 0
.LBB5_1196:                             ;   in Loop: Header=BB5_1181 Depth=2
	s_cmp_gt_u32 s57, 7
	s_cbranch_scc1 .LBB5_1200
; %bb.1197:                             ;   in Loop: Header=BB5_1181 Depth=2
	s_cmp_eq_u32 s57, 0
	s_cbranch_scc1 .LBB5_1201
; %bb.1198:                             ;   in Loop: Header=BB5_1181 Depth=2
	s_mov_b64 s[52:53], 0
	v_pk_mov_b32 v[24:25], 0, 0
	s_mov_b64 s[54:55], 0
.LBB5_1199:                             ;   Parent Loop BB5_278 Depth=1
                                        ;     Parent Loop BB5_1181 Depth=2
                                        ; =>    This Inner Loop Header: Depth=3
	s_add_u32 s58, s4, s54
	s_addc_u32 s59, s5, s55
	global_load_ubyte v2, v3, s[58:59]
	s_add_u32 s54, s54, 1
	s_addc_u32 s55, s55, 0
	s_waitcnt vmcnt(0)
	v_and_b32_e32 v2, 0xffff, v2
	v_lshlrev_b64 v[6:7], s52, v[2:3]
	s_add_u32 s52, s52, 8
	s_addc_u32 s53, s53, 0
	v_or_b32_e32 v24, v6, v24
	s_cmp_lg_u32 s57, s54
	v_or_b32_e32 v25, v7, v25
	s_cbranch_scc1 .LBB5_1199
	s_branch .LBB5_1202
.LBB5_1200:                             ;   in Loop: Header=BB5_1181 Depth=2
                                        ; implicit-def: $sgpr56
	s_branch .LBB5_1203
.LBB5_1201:                             ;   in Loop: Header=BB5_1181 Depth=2
	v_pk_mov_b32 v[24:25], 0, 0
.LBB5_1202:                             ;   in Loop: Header=BB5_1181 Depth=2
	s_mov_b32 s56, 0
	s_cbranch_execnz .LBB5_1204
.LBB5_1203:                             ;   in Loop: Header=BB5_1181 Depth=2
	global_load_dwordx2 v[24:25], v3, s[4:5]
	s_add_i32 s56, s57, -8
	s_add_u32 s4, s4, 8
	s_addc_u32 s5, s5, 0
.LBB5_1204:                             ;   in Loop: Header=BB5_1181 Depth=2
	s_cmp_gt_u32 s56, 7
	s_cbranch_scc1 .LBB5_1208
; %bb.1205:                             ;   in Loop: Header=BB5_1181 Depth=2
	s_cmp_eq_u32 s56, 0
	s_cbranch_scc1 .LBB5_1209
; %bb.1206:                             ;   in Loop: Header=BB5_1181 Depth=2
	s_mov_b64 s[52:53], 0
	v_pk_mov_b32 v[26:27], 0, 0
	s_mov_b64 s[54:55], 0
.LBB5_1207:                             ;   Parent Loop BB5_278 Depth=1
                                        ;     Parent Loop BB5_1181 Depth=2
                                        ; =>    This Inner Loop Header: Depth=3
	s_add_u32 s58, s4, s54
	s_addc_u32 s59, s5, s55
	global_load_ubyte v2, v3, s[58:59]
	s_add_u32 s54, s54, 1
	s_addc_u32 s55, s55, 0
	s_waitcnt vmcnt(0)
	v_and_b32_e32 v2, 0xffff, v2
	v_lshlrev_b64 v[6:7], s52, v[2:3]
	s_add_u32 s52, s52, 8
	s_addc_u32 s53, s53, 0
	v_or_b32_e32 v26, v6, v26
	s_cmp_lg_u32 s56, s54
	v_or_b32_e32 v27, v7, v27
	s_cbranch_scc1 .LBB5_1207
	s_branch .LBB5_1210
.LBB5_1208:                             ;   in Loop: Header=BB5_1181 Depth=2
                                        ; implicit-def: $vgpr26_vgpr27
                                        ; implicit-def: $sgpr57
	s_branch .LBB5_1211
.LBB5_1209:                             ;   in Loop: Header=BB5_1181 Depth=2
	v_pk_mov_b32 v[26:27], 0, 0
.LBB5_1210:                             ;   in Loop: Header=BB5_1181 Depth=2
	s_mov_b32 s57, 0
	s_cbranch_execnz .LBB5_1212
.LBB5_1211:                             ;   in Loop: Header=BB5_1181 Depth=2
	global_load_dwordx2 v[26:27], v3, s[4:5]
	s_add_i32 s57, s56, -8
	s_add_u32 s4, s4, 8
	s_addc_u32 s5, s5, 0
.LBB5_1212:                             ;   in Loop: Header=BB5_1181 Depth=2
	s_cmp_gt_u32 s57, 7
	s_cbranch_scc1 .LBB5_1216
; %bb.1213:                             ;   in Loop: Header=BB5_1181 Depth=2
	s_cmp_eq_u32 s57, 0
	s_cbranch_scc1 .LBB5_1217
; %bb.1214:                             ;   in Loop: Header=BB5_1181 Depth=2
	s_mov_b64 s[52:53], 0
	v_pk_mov_b32 v[28:29], 0, 0
	s_mov_b64 s[54:55], 0
.LBB5_1215:                             ;   Parent Loop BB5_278 Depth=1
                                        ;     Parent Loop BB5_1181 Depth=2
                                        ; =>    This Inner Loop Header: Depth=3
	s_add_u32 s58, s4, s54
	s_addc_u32 s59, s5, s55
	global_load_ubyte v2, v3, s[58:59]
	s_add_u32 s54, s54, 1
	s_addc_u32 s55, s55, 0
	s_waitcnt vmcnt(0)
	v_and_b32_e32 v2, 0xffff, v2
	v_lshlrev_b64 v[6:7], s52, v[2:3]
	s_add_u32 s52, s52, 8
	s_addc_u32 s53, s53, 0
	v_or_b32_e32 v28, v6, v28
	s_cmp_lg_u32 s57, s54
	v_or_b32_e32 v29, v7, v29
	s_cbranch_scc1 .LBB5_1215
	s_branch .LBB5_1218
.LBB5_1216:                             ;   in Loop: Header=BB5_1181 Depth=2
                                        ; implicit-def: $sgpr56
	s_branch .LBB5_1219
.LBB5_1217:                             ;   in Loop: Header=BB5_1181 Depth=2
	v_pk_mov_b32 v[28:29], 0, 0
.LBB5_1218:                             ;   in Loop: Header=BB5_1181 Depth=2
	s_mov_b32 s56, 0
	s_cbranch_execnz .LBB5_1220
.LBB5_1219:                             ;   in Loop: Header=BB5_1181 Depth=2
	global_load_dwordx2 v[28:29], v3, s[4:5]
	s_add_i32 s56, s57, -8
	s_add_u32 s4, s4, 8
	s_addc_u32 s5, s5, 0
.LBB5_1220:                             ;   in Loop: Header=BB5_1181 Depth=2
	s_cmp_gt_u32 s56, 7
	s_cbranch_scc1 .LBB5_1224
; %bb.1221:                             ;   in Loop: Header=BB5_1181 Depth=2
	s_cmp_eq_u32 s56, 0
	s_cbranch_scc1 .LBB5_1225
; %bb.1222:                             ;   in Loop: Header=BB5_1181 Depth=2
	s_mov_b64 s[52:53], 0
	v_pk_mov_b32 v[30:31], 0, 0
	s_mov_b64 s[54:55], 0
.LBB5_1223:                             ;   Parent Loop BB5_278 Depth=1
                                        ;     Parent Loop BB5_1181 Depth=2
                                        ; =>    This Inner Loop Header: Depth=3
	s_add_u32 s58, s4, s54
	s_addc_u32 s59, s5, s55
	global_load_ubyte v2, v3, s[58:59]
	s_add_u32 s54, s54, 1
	s_addc_u32 s55, s55, 0
	s_waitcnt vmcnt(0)
	v_and_b32_e32 v2, 0xffff, v2
	v_lshlrev_b64 v[6:7], s52, v[2:3]
	s_add_u32 s52, s52, 8
	s_addc_u32 s53, s53, 0
	v_or_b32_e32 v30, v6, v30
	s_cmp_lg_u32 s56, s54
	v_or_b32_e32 v31, v7, v31
	s_cbranch_scc1 .LBB5_1223
	s_branch .LBB5_1226
.LBB5_1224:                             ;   in Loop: Header=BB5_1181 Depth=2
                                        ; implicit-def: $vgpr30_vgpr31
                                        ; implicit-def: $sgpr57
	s_branch .LBB5_1227
.LBB5_1225:                             ;   in Loop: Header=BB5_1181 Depth=2
	v_pk_mov_b32 v[30:31], 0, 0
.LBB5_1226:                             ;   in Loop: Header=BB5_1181 Depth=2
	s_mov_b32 s57, 0
	s_cbranch_execnz .LBB5_1228
.LBB5_1227:                             ;   in Loop: Header=BB5_1181 Depth=2
	global_load_dwordx2 v[30:31], v3, s[4:5]
	s_add_i32 s57, s56, -8
	s_add_u32 s4, s4, 8
	s_addc_u32 s5, s5, 0
.LBB5_1228:                             ;   in Loop: Header=BB5_1181 Depth=2
	s_cmp_gt_u32 s57, 7
	s_cbranch_scc1 .LBB5_1232
; %bb.1229:                             ;   in Loop: Header=BB5_1181 Depth=2
	s_cmp_eq_u32 s57, 0
	s_cbranch_scc1 .LBB5_1233
; %bb.1230:                             ;   in Loop: Header=BB5_1181 Depth=2
	s_mov_b64 s[52:53], 0
	v_pk_mov_b32 v[32:33], 0, 0
	s_mov_b64 s[54:55], s[4:5]
.LBB5_1231:                             ;   Parent Loop BB5_278 Depth=1
                                        ;     Parent Loop BB5_1181 Depth=2
                                        ; =>    This Inner Loop Header: Depth=3
	global_load_ubyte v2, v3, s[54:55]
	s_add_i32 s57, s57, -1
	s_waitcnt vmcnt(0)
	v_and_b32_e32 v2, 0xffff, v2
	v_lshlrev_b64 v[6:7], s52, v[2:3]
	s_add_u32 s52, s52, 8
	s_addc_u32 s53, s53, 0
	s_add_u32 s54, s54, 1
	s_addc_u32 s55, s55, 0
	v_or_b32_e32 v32, v6, v32
	s_cmp_lg_u32 s57, 0
	v_or_b32_e32 v33, v7, v33
	s_cbranch_scc1 .LBB5_1231
	s_branch .LBB5_1234
.LBB5_1232:                             ;   in Loop: Header=BB5_1181 Depth=2
	s_branch .LBB5_1235
.LBB5_1233:                             ;   in Loop: Header=BB5_1181 Depth=2
	v_pk_mov_b32 v[32:33], 0, 0
.LBB5_1234:                             ;   in Loop: Header=BB5_1181 Depth=2
	s_cbranch_execnz .LBB5_1236
.LBB5_1235:                             ;   in Loop: Header=BB5_1181 Depth=2
	global_load_dwordx2 v[32:33], v3, s[4:5]
.LBB5_1236:                             ;   in Loop: Header=BB5_1181 Depth=2
	v_readfirstlane_b32 s4, v51
	v_cmp_eq_u32_e64 s[4:5], s4, v51
	v_pk_mov_b32 v[6:7], 0, 0
	s_and_saveexec_b64 s[52:53], s[4:5]
	s_cbranch_execz .LBB5_1242
; %bb.1237:                             ;   in Loop: Header=BB5_1181 Depth=2
	global_load_dwordx2 v[36:37], v3, s[34:35] offset:24 glc
	s_waitcnt vmcnt(0)
	buffer_invl2
	buffer_wbinvl1_vol
	global_load_dwordx2 v[6:7], v3, s[34:35] offset:40
	global_load_dwordx2 v[34:35], v3, s[34:35]
	s_waitcnt vmcnt(1)
	v_and_b32_e32 v2, v6, v36
	v_and_b32_e32 v5, v7, v37
	v_mul_lo_u32 v5, v5, 24
	v_mul_hi_u32 v6, v2, 24
	v_mul_lo_u32 v2, v2, 24
	v_add_u32_e32 v5, v6, v5
	s_waitcnt vmcnt(0)
	v_add_co_u32_e32 v6, vcc, v34, v2
	v_addc_co_u32_e32 v7, vcc, v35, v5, vcc
	global_load_dwordx2 v[34:35], v[6:7], off glc
	s_waitcnt vmcnt(0)
	global_atomic_cmpswap_x2 v[6:7], v3, v[34:37], s[34:35] offset:24 glc
	s_waitcnt vmcnt(0)
	buffer_invl2
	buffer_wbinvl1_vol
	v_cmp_ne_u64_e32 vcc, v[6:7], v[36:37]
	s_and_saveexec_b64 s[54:55], vcc
	s_cbranch_execz .LBB5_1241
; %bb.1238:                             ;   in Loop: Header=BB5_1181 Depth=2
	s_mov_b64 s[56:57], 0
.LBB5_1239:                             ;   Parent Loop BB5_278 Depth=1
                                        ;     Parent Loop BB5_1181 Depth=2
                                        ; =>    This Inner Loop Header: Depth=3
	s_sleep 1
	global_load_dwordx2 v[34:35], v3, s[34:35] offset:40
	global_load_dwordx2 v[38:39], v3, s[34:35]
	v_pk_mov_b32 v[36:37], v[6:7], v[6:7] op_sel:[0,1]
	s_waitcnt vmcnt(1)
	v_and_b32_e32 v2, v34, v36
	s_waitcnt vmcnt(0)
	v_mad_u64_u32 v[6:7], s[58:59], v2, 24, v[38:39]
	v_and_b32_e32 v5, v35, v37
	v_mov_b32_e32 v2, v7
	v_mad_u64_u32 v[34:35], s[58:59], v5, 24, v[2:3]
	v_mov_b32_e32 v7, v34
	global_load_dwordx2 v[34:35], v[6:7], off glc
	s_waitcnt vmcnt(0)
	global_atomic_cmpswap_x2 v[6:7], v3, v[34:37], s[34:35] offset:24 glc
	s_waitcnt vmcnt(0)
	buffer_invl2
	buffer_wbinvl1_vol
	v_cmp_eq_u64_e32 vcc, v[6:7], v[36:37]
	s_or_b64 s[56:57], vcc, s[56:57]
	s_andn2_b64 exec, exec, s[56:57]
	s_cbranch_execnz .LBB5_1239
; %bb.1240:                             ;   in Loop: Header=BB5_1181 Depth=2
	s_or_b64 exec, exec, s[56:57]
.LBB5_1241:                             ;   in Loop: Header=BB5_1181 Depth=2
	s_or_b64 exec, exec, s[54:55]
.LBB5_1242:                             ;   in Loop: Header=BB5_1181 Depth=2
	s_or_b64 exec, exec, s[52:53]
	global_load_dwordx2 v[38:39], v3, s[34:35] offset:40
	global_load_dwordx4 v[34:37], v3, s[34:35]
	v_readfirstlane_b32 s52, v6
	v_readfirstlane_b32 s53, v7
	s_mov_b64 s[54:55], exec
	s_waitcnt vmcnt(1)
	v_readfirstlane_b32 s56, v38
	v_readfirstlane_b32 s57, v39
	s_and_b64 s[56:57], s[52:53], s[56:57]
	s_mul_i32 s58, s57, 24
	s_mul_hi_u32 s59, s56, 24
	s_mul_i32 s61, s56, 24
	s_add_i32 s58, s59, s58
	v_mov_b32_e32 v2, s58
	s_waitcnt vmcnt(0)
	v_add_co_u32_e32 v38, vcc, s61, v34
	v_addc_co_u32_e32 v39, vcc, v35, v2, vcc
	s_and_saveexec_b64 s[58:59], s[4:5]
	s_cbranch_execz .LBB5_1244
; %bb.1243:                             ;   in Loop: Header=BB5_1181 Depth=2
	v_pk_mov_b32 v[6:7], s[54:55], s[54:55] op_sel:[0,1]
	global_store_dwordx4 v[38:39], v[6:9], off offset:8
.LBB5_1244:                             ;   in Loop: Header=BB5_1181 Depth=2
	s_or_b64 exec, exec, s[58:59]
	s_lshl_b64 s[54:55], s[56:57], 12
	v_mov_b32_e32 v2, s55
	v_add_co_u32_e32 v6, vcc, s54, v36
	v_addc_co_u32_e32 v5, vcc, v37, v2, vcc
	v_or_b32_e32 v2, 2, v18
	v_cmp_gt_u64_e64 vcc, s[28:29], 56
	s_lshl_b32 s54, s30, 2
	v_cndmask_b32_e32 v2, v2, v18, vcc
	s_add_i32 s54, s54, 28
	s_and_b32 s54, s54, 0x1e0
	v_and_b32_e32 v2, 0xffffff1f, v2
	v_or_b32_e32 v18, s54, v2
	v_readfirstlane_b32 s54, v6
	v_readfirstlane_b32 s55, v5
	s_nop 4
	global_store_dwordx4 v50, v[18:21], s[54:55]
	global_store_dwordx4 v50, v[22:25], s[54:55] offset:16
	global_store_dwordx4 v50, v[26:29], s[54:55] offset:32
	;; [unrolled: 1-line block ×3, first 2 shown]
	s_and_saveexec_b64 s[54:55], s[4:5]
	s_cbranch_execz .LBB5_1252
; %bb.1245:                             ;   in Loop: Header=BB5_1181 Depth=2
	global_load_dwordx2 v[26:27], v3, s[34:35] offset:32 glc
	global_load_dwordx2 v[18:19], v3, s[34:35] offset:40
	v_mov_b32_e32 v24, s52
	v_mov_b32_e32 v25, s53
	s_waitcnt vmcnt(0)
	v_readfirstlane_b32 s56, v18
	v_readfirstlane_b32 s57, v19
	s_and_b64 s[56:57], s[56:57], s[52:53]
	s_mul_i32 s57, s57, 24
	s_mul_hi_u32 s58, s56, 24
	s_mul_i32 s56, s56, 24
	s_add_i32 s57, s58, s57
	v_mov_b32_e32 v2, s57
	v_add_co_u32_e32 v22, vcc, s56, v34
	v_addc_co_u32_e32 v23, vcc, v35, v2, vcc
	global_store_dwordx2 v[22:23], v[26:27], off
	buffer_wbl2
	s_waitcnt vmcnt(0)
	global_atomic_cmpswap_x2 v[20:21], v3, v[24:27], s[34:35] offset:32 glc
	s_waitcnt vmcnt(0)
	v_cmp_ne_u64_e32 vcc, v[20:21], v[26:27]
	s_and_saveexec_b64 s[56:57], vcc
	s_cbranch_execz .LBB5_1248
; %bb.1246:                             ;   in Loop: Header=BB5_1181 Depth=2
	s_mov_b64 s[58:59], 0
.LBB5_1247:                             ;   Parent Loop BB5_278 Depth=1
                                        ;     Parent Loop BB5_1181 Depth=2
                                        ; =>    This Inner Loop Header: Depth=3
	s_sleep 1
	global_store_dwordx2 v[22:23], v[20:21], off
	v_mov_b32_e32 v18, s52
	v_mov_b32_e32 v19, s53
	buffer_wbl2
	s_waitcnt vmcnt(0)
	global_atomic_cmpswap_x2 v[18:19], v3, v[18:21], s[34:35] offset:32 glc
	s_waitcnt vmcnt(0)
	v_cmp_eq_u64_e32 vcc, v[18:19], v[20:21]
	s_or_b64 s[58:59], vcc, s[58:59]
	v_pk_mov_b32 v[20:21], v[18:19], v[18:19] op_sel:[0,1]
	s_andn2_b64 exec, exec, s[58:59]
	s_cbranch_execnz .LBB5_1247
.LBB5_1248:                             ;   in Loop: Header=BB5_1181 Depth=2
	s_or_b64 exec, exec, s[56:57]
	global_load_dwordx2 v[18:19], v3, s[34:35] offset:16
	s_mov_b64 s[58:59], exec
	v_mbcnt_lo_u32_b32 v2, s58, 0
	v_mbcnt_hi_u32_b32 v2, s59, v2
	v_cmp_eq_u32_e32 vcc, 0, v2
	s_and_saveexec_b64 s[56:57], vcc
	s_cbranch_execz .LBB5_1250
; %bb.1249:                             ;   in Loop: Header=BB5_1181 Depth=2
	s_bcnt1_i32_b64 s58, s[58:59]
	v_mov_b32_e32 v2, s58
	buffer_wbl2
	s_waitcnt vmcnt(0)
	global_atomic_add_x2 v[18:19], v[2:3], off offset:8
.LBB5_1250:                             ;   in Loop: Header=BB5_1181 Depth=2
	s_or_b64 exec, exec, s[56:57]
	s_waitcnt vmcnt(0)
	global_load_dwordx2 v[20:21], v[18:19], off offset:16
	s_waitcnt vmcnt(0)
	v_cmp_eq_u64_e32 vcc, 0, v[20:21]
	s_cbranch_vccnz .LBB5_1252
; %bb.1251:                             ;   in Loop: Header=BB5_1181 Depth=2
	global_load_dword v2, v[18:19], off offset:24
	buffer_wbl2
	s_waitcnt vmcnt(0)
	global_store_dwordx2 v[20:21], v[2:3], off
	v_and_b32_e32 v2, 0xffffff, v2
	v_readfirstlane_b32 m0, v2
	s_sendmsg sendmsg(MSG_INTERRUPT)
.LBB5_1252:                             ;   in Loop: Header=BB5_1181 Depth=2
	s_or_b64 exec, exec, s[54:55]
	v_add_co_u32_e32 v6, vcc, v6, v50
	v_addc_co_u32_e32 v7, vcc, 0, v5, vcc
	s_branch .LBB5_1256
.LBB5_1253:                             ;   in Loop: Header=BB5_1256 Depth=3
	s_or_b64 exec, exec, s[54:55]
	v_readfirstlane_b32 s54, v2
	s_cmp_eq_u32 s54, 0
	s_cbranch_scc1 .LBB5_1255
; %bb.1254:                             ;   in Loop: Header=BB5_1256 Depth=3
	s_sleep 1
	s_cbranch_execnz .LBB5_1256
	s_branch .LBB5_1258
.LBB5_1255:                             ;   in Loop: Header=BB5_1181 Depth=2
	s_branch .LBB5_1258
.LBB5_1256:                             ;   Parent Loop BB5_278 Depth=1
                                        ;     Parent Loop BB5_1181 Depth=2
                                        ; =>    This Inner Loop Header: Depth=3
	v_mov_b32_e32 v2, 1
	s_and_saveexec_b64 s[54:55], s[4:5]
	s_cbranch_execz .LBB5_1253
; %bb.1257:                             ;   in Loop: Header=BB5_1256 Depth=3
	global_load_dword v2, v[38:39], off offset:20 glc
	s_waitcnt vmcnt(0)
	buffer_invl2
	buffer_wbinvl1_vol
	v_and_b32_e32 v2, 1, v2
	s_branch .LBB5_1253
.LBB5_1258:                             ;   in Loop: Header=BB5_1181 Depth=2
	global_load_dwordx4 v[18:21], v[6:7], off
	s_and_saveexec_b64 s[54:55], s[4:5]
	s_cbranch_execz .LBB5_1180
; %bb.1259:                             ;   in Loop: Header=BB5_1181 Depth=2
	global_load_dwordx2 v[6:7], v3, s[34:35] offset:40
	global_load_dwordx2 v[24:25], v3, s[34:35] offset:24 glc
	global_load_dwordx2 v[26:27], v3, s[34:35]
	v_mov_b32_e32 v2, s53
	s_waitcnt vmcnt(2)
	v_add_co_u32_e32 v5, vcc, 1, v6
	v_addc_co_u32_e32 v23, vcc, 0, v7, vcc
	v_add_co_u32_e32 v20, vcc, s52, v5
	v_addc_co_u32_e32 v21, vcc, v23, v2, vcc
	v_cmp_eq_u64_e32 vcc, 0, v[20:21]
	v_cndmask_b32_e32 v21, v21, v23, vcc
	v_cndmask_b32_e32 v20, v20, v5, vcc
	v_and_b32_e32 v2, v21, v7
	v_and_b32_e32 v5, v20, v6
	v_mul_lo_u32 v2, v2, 24
	v_mul_hi_u32 v6, v5, 24
	v_mul_lo_u32 v5, v5, 24
	v_add_u32_e32 v2, v6, v2
	s_waitcnt vmcnt(0)
	v_add_co_u32_e32 v6, vcc, v26, v5
	v_addc_co_u32_e32 v7, vcc, v27, v2, vcc
	v_mov_b32_e32 v22, v24
	global_store_dwordx2 v[6:7], v[24:25], off
	v_mov_b32_e32 v23, v25
	buffer_wbl2
	s_waitcnt vmcnt(0)
	global_atomic_cmpswap_x2 v[22:23], v3, v[20:23], s[34:35] offset:24 glc
	s_waitcnt vmcnt(0)
	v_cmp_ne_u64_e32 vcc, v[22:23], v[24:25]
	s_and_b64 exec, exec, vcc
	s_cbranch_execz .LBB5_1180
; %bb.1260:                             ;   in Loop: Header=BB5_1181 Depth=2
	s_mov_b64 s[4:5], 0
.LBB5_1261:                             ;   Parent Loop BB5_278 Depth=1
                                        ;     Parent Loop BB5_1181 Depth=2
                                        ; =>    This Inner Loop Header: Depth=3
	s_sleep 1
	global_store_dwordx2 v[6:7], v[22:23], off
	buffer_wbl2
	s_waitcnt vmcnt(0)
	global_atomic_cmpswap_x2 v[24:25], v3, v[20:23], s[34:35] offset:24 glc
	s_waitcnt vmcnt(0)
	v_cmp_eq_u64_e32 vcc, v[24:25], v[22:23]
	s_or_b64 s[4:5], vcc, s[4:5]
	v_pk_mov_b32 v[22:23], v[24:25], v[24:25] op_sel:[0,1]
	s_andn2_b64 exec, exec, s[4:5]
	s_cbranch_execnz .LBB5_1261
	s_branch .LBB5_1180
.LBB5_1262:                             ;   in Loop: Header=BB5_278 Depth=1
	s_branch .LBB5_1291
.LBB5_1263:                             ;   in Loop: Header=BB5_278 Depth=1
	s_cbranch_execz .LBB5_1291
; %bb.1264:                             ;   in Loop: Header=BB5_278 Depth=1
	v_readfirstlane_b32 s4, v51
	v_cmp_eq_u32_e64 s[4:5], s4, v51
	v_pk_mov_b32 v[6:7], 0, 0
	s_and_saveexec_b64 s[24:25], s[4:5]
	s_cbranch_execz .LBB5_1270
; %bb.1265:                             ;   in Loop: Header=BB5_278 Depth=1
	global_load_dwordx2 v[20:21], v3, s[34:35] offset:24 glc
	s_waitcnt vmcnt(0)
	buffer_invl2
	buffer_wbinvl1_vol
	global_load_dwordx2 v[6:7], v3, s[34:35] offset:40
	global_load_dwordx2 v[18:19], v3, s[34:35]
	s_waitcnt vmcnt(1)
	v_and_b32_e32 v2, v6, v20
	v_and_b32_e32 v5, v7, v21
	v_mul_lo_u32 v5, v5, 24
	v_mul_hi_u32 v6, v2, 24
	v_mul_lo_u32 v2, v2, 24
	v_add_u32_e32 v5, v6, v5
	s_waitcnt vmcnt(0)
	v_add_co_u32_e32 v6, vcc, v18, v2
	v_addc_co_u32_e32 v7, vcc, v19, v5, vcc
	global_load_dwordx2 v[18:19], v[6:7], off glc
	s_waitcnt vmcnt(0)
	global_atomic_cmpswap_x2 v[6:7], v3, v[18:21], s[34:35] offset:24 glc
	s_waitcnt vmcnt(0)
	buffer_invl2
	buffer_wbinvl1_vol
	v_cmp_ne_u64_e32 vcc, v[6:7], v[20:21]
	s_and_saveexec_b64 s[28:29], vcc
	s_cbranch_execz .LBB5_1269
; %bb.1266:                             ;   in Loop: Header=BB5_278 Depth=1
	s_mov_b64 s[30:31], 0
.LBB5_1267:                             ;   Parent Loop BB5_278 Depth=1
                                        ; =>  This Inner Loop Header: Depth=2
	s_sleep 1
	global_load_dwordx2 v[18:19], v3, s[34:35] offset:40
	global_load_dwordx2 v[22:23], v3, s[34:35]
	v_pk_mov_b32 v[20:21], v[6:7], v[6:7] op_sel:[0,1]
	s_waitcnt vmcnt(1)
	v_and_b32_e32 v2, v18, v20
	s_waitcnt vmcnt(0)
	v_mad_u64_u32 v[6:7], s[52:53], v2, 24, v[22:23]
	v_and_b32_e32 v5, v19, v21
	v_mov_b32_e32 v2, v7
	v_mad_u64_u32 v[18:19], s[52:53], v5, 24, v[2:3]
	v_mov_b32_e32 v7, v18
	global_load_dwordx2 v[18:19], v[6:7], off glc
	s_waitcnt vmcnt(0)
	global_atomic_cmpswap_x2 v[6:7], v3, v[18:21], s[34:35] offset:24 glc
	s_waitcnt vmcnt(0)
	buffer_invl2
	buffer_wbinvl1_vol
	v_cmp_eq_u64_e32 vcc, v[6:7], v[20:21]
	s_or_b64 s[30:31], vcc, s[30:31]
	s_andn2_b64 exec, exec, s[30:31]
	s_cbranch_execnz .LBB5_1267
; %bb.1268:                             ;   in Loop: Header=BB5_278 Depth=1
	s_or_b64 exec, exec, s[30:31]
.LBB5_1269:                             ;   in Loop: Header=BB5_278 Depth=1
	s_or_b64 exec, exec, s[28:29]
.LBB5_1270:                             ;   in Loop: Header=BB5_278 Depth=1
	s_or_b64 exec, exec, s[24:25]
	global_load_dwordx2 v[22:23], v3, s[34:35] offset:40
	global_load_dwordx4 v[18:21], v3, s[34:35]
	v_readfirstlane_b32 s24, v6
	v_readfirstlane_b32 s25, v7
	s_mov_b64 s[28:29], exec
	s_waitcnt vmcnt(1)
	v_readfirstlane_b32 s30, v22
	v_readfirstlane_b32 s31, v23
	s_and_b64 s[30:31], s[24:25], s[30:31]
	s_mul_i32 s52, s31, 24
	s_mul_hi_u32 s53, s30, 24
	s_mul_i32 s54, s30, 24
	s_add_i32 s52, s53, s52
	v_mov_b32_e32 v2, s52
	s_waitcnt vmcnt(0)
	v_add_co_u32_e32 v22, vcc, s54, v18
	v_addc_co_u32_e32 v23, vcc, v19, v2, vcc
	s_and_saveexec_b64 s[52:53], s[4:5]
	s_cbranch_execz .LBB5_1272
; %bb.1271:                             ;   in Loop: Header=BB5_278 Depth=1
	v_pk_mov_b32 v[6:7], s[28:29], s[28:29] op_sel:[0,1]
	global_store_dwordx4 v[22:23], v[6:9], off offset:8
.LBB5_1272:                             ;   in Loop: Header=BB5_278 Depth=1
	s_or_b64 exec, exec, s[52:53]
	s_lshl_b64 s[28:29], s[30:31], 12
	v_mov_b32_e32 v2, s29
	v_add_co_u32_e32 v6, vcc, s28, v20
	v_addc_co_u32_e32 v5, vcc, v21, v2, vcc
	v_pk_mov_b32 v[26:27], s[10:11], s[10:11] op_sel:[0,1]
	v_and_or_b32 v0, v0, s60, 34
	v_mov_b32_e32 v2, v3
	v_readfirstlane_b32 s28, v6
	v_readfirstlane_b32 s29, v5
	v_pk_mov_b32 v[24:25], s[8:9], s[8:9] op_sel:[0,1]
	s_nop 3
	global_store_dwordx4 v50, v[0:3], s[28:29]
	global_store_dwordx4 v50, v[24:27], s[28:29] offset:16
	global_store_dwordx4 v50, v[24:27], s[28:29] offset:32
	;; [unrolled: 1-line block ×3, first 2 shown]
	s_and_saveexec_b64 s[28:29], s[4:5]
	s_cbranch_execz .LBB5_1280
; %bb.1273:                             ;   in Loop: Header=BB5_278 Depth=1
	global_load_dwordx2 v[26:27], v3, s[34:35] offset:32 glc
	global_load_dwordx2 v[0:1], v3, s[34:35] offset:40
	v_mov_b32_e32 v24, s24
	v_mov_b32_e32 v25, s25
	s_waitcnt vmcnt(0)
	v_readfirstlane_b32 s30, v0
	v_readfirstlane_b32 s31, v1
	s_and_b64 s[30:31], s[30:31], s[24:25]
	s_mul_i32 s31, s31, 24
	s_mul_hi_u32 s52, s30, 24
	s_mul_i32 s30, s30, 24
	s_add_i32 s31, s52, s31
	v_mov_b32_e32 v1, s31
	v_add_co_u32_e32 v0, vcc, s30, v18
	v_addc_co_u32_e32 v1, vcc, v19, v1, vcc
	global_store_dwordx2 v[0:1], v[26:27], off
	buffer_wbl2
	s_waitcnt vmcnt(0)
	global_atomic_cmpswap_x2 v[20:21], v3, v[24:27], s[34:35] offset:32 glc
	s_waitcnt vmcnt(0)
	v_cmp_ne_u64_e32 vcc, v[20:21], v[26:27]
	s_and_saveexec_b64 s[30:31], vcc
	s_cbranch_execz .LBB5_1276
; %bb.1274:                             ;   in Loop: Header=BB5_278 Depth=1
	s_mov_b64 s[52:53], 0
.LBB5_1275:                             ;   Parent Loop BB5_278 Depth=1
                                        ; =>  This Inner Loop Header: Depth=2
	s_sleep 1
	global_store_dwordx2 v[0:1], v[20:21], off
	v_mov_b32_e32 v18, s24
	v_mov_b32_e32 v19, s25
	buffer_wbl2
	s_waitcnt vmcnt(0)
	global_atomic_cmpswap_x2 v[6:7], v3, v[18:21], s[34:35] offset:32 glc
	s_waitcnt vmcnt(0)
	v_cmp_eq_u64_e32 vcc, v[6:7], v[20:21]
	s_or_b64 s[52:53], vcc, s[52:53]
	v_pk_mov_b32 v[20:21], v[6:7], v[6:7] op_sel:[0,1]
	s_andn2_b64 exec, exec, s[52:53]
	s_cbranch_execnz .LBB5_1275
.LBB5_1276:                             ;   in Loop: Header=BB5_278 Depth=1
	s_or_b64 exec, exec, s[30:31]
	global_load_dwordx2 v[0:1], v3, s[34:35] offset:16
	s_mov_b64 s[52:53], exec
	v_mbcnt_lo_u32_b32 v2, s52, 0
	v_mbcnt_hi_u32_b32 v2, s53, v2
	v_cmp_eq_u32_e32 vcc, 0, v2
	s_and_saveexec_b64 s[30:31], vcc
	s_cbranch_execz .LBB5_1278
; %bb.1277:                             ;   in Loop: Header=BB5_278 Depth=1
	s_bcnt1_i32_b64 s52, s[52:53]
	v_mov_b32_e32 v2, s52
	buffer_wbl2
	s_waitcnt vmcnt(0)
	global_atomic_add_x2 v[0:1], v[2:3], off offset:8
.LBB5_1278:                             ;   in Loop: Header=BB5_278 Depth=1
	s_or_b64 exec, exec, s[30:31]
	s_waitcnt vmcnt(0)
	global_load_dwordx2 v[6:7], v[0:1], off offset:16
	s_waitcnt vmcnt(0)
	v_cmp_eq_u64_e32 vcc, 0, v[6:7]
	s_cbranch_vccnz .LBB5_1280
; %bb.1279:                             ;   in Loop: Header=BB5_278 Depth=1
	global_load_dword v2, v[0:1], off offset:24
	s_waitcnt vmcnt(0)
	v_and_b32_e32 v0, 0xffffff, v2
	v_readfirstlane_b32 m0, v0
	buffer_wbl2
	global_store_dwordx2 v[6:7], v[2:3], off
	s_sendmsg sendmsg(MSG_INTERRUPT)
.LBB5_1280:                             ;   in Loop: Header=BB5_278 Depth=1
	s_or_b64 exec, exec, s[28:29]
	s_branch .LBB5_1284
.LBB5_1281:                             ;   in Loop: Header=BB5_1284 Depth=2
	s_or_b64 exec, exec, s[28:29]
	v_readfirstlane_b32 s28, v0
	s_cmp_eq_u32 s28, 0
	s_cbranch_scc1 .LBB5_1283
; %bb.1282:                             ;   in Loop: Header=BB5_1284 Depth=2
	s_sleep 1
	s_cbranch_execnz .LBB5_1284
	s_branch .LBB5_1286
.LBB5_1283:                             ;   in Loop: Header=BB5_278 Depth=1
	s_branch .LBB5_1286
.LBB5_1284:                             ;   Parent Loop BB5_278 Depth=1
                                        ; =>  This Inner Loop Header: Depth=2
	v_mov_b32_e32 v0, 1
	s_and_saveexec_b64 s[28:29], s[4:5]
	s_cbranch_execz .LBB5_1281
; %bb.1285:                             ;   in Loop: Header=BB5_1284 Depth=2
	global_load_dword v0, v[22:23], off offset:20 glc
	s_waitcnt vmcnt(0)
	buffer_invl2
	buffer_wbinvl1_vol
	v_and_b32_e32 v0, 1, v0
	s_branch .LBB5_1281
.LBB5_1286:                             ;   in Loop: Header=BB5_278 Depth=1
	s_and_saveexec_b64 s[28:29], s[4:5]
	s_cbranch_execz .LBB5_1290
; %bb.1287:                             ;   in Loop: Header=BB5_278 Depth=1
	global_load_dwordx2 v[0:1], v3, s[34:35] offset:40
	global_load_dwordx2 v[6:7], v3, s[34:35] offset:24 glc
	global_load_dwordx2 v[22:23], v3, s[34:35]
	v_mov_b32_e32 v2, s25
	s_waitcnt vmcnt(2)
	v_add_co_u32_e32 v5, vcc, 1, v0
	v_addc_co_u32_e32 v21, vcc, 0, v1, vcc
	v_add_co_u32_e32 v18, vcc, s24, v5
	v_addc_co_u32_e32 v19, vcc, v21, v2, vcc
	v_cmp_eq_u64_e32 vcc, 0, v[18:19]
	v_cndmask_b32_e32 v19, v19, v21, vcc
	v_cndmask_b32_e32 v18, v18, v5, vcc
	v_and_b32_e32 v1, v19, v1
	v_and_b32_e32 v0, v18, v0
	v_mul_lo_u32 v1, v1, 24
	v_mul_hi_u32 v2, v0, 24
	v_mul_lo_u32 v0, v0, 24
	v_add_u32_e32 v1, v2, v1
	s_waitcnt vmcnt(0)
	v_add_co_u32_e32 v0, vcc, v22, v0
	v_addc_co_u32_e32 v1, vcc, v23, v1, vcc
	v_mov_b32_e32 v20, v6
	global_store_dwordx2 v[0:1], v[6:7], off
	v_mov_b32_e32 v21, v7
	buffer_wbl2
	s_waitcnt vmcnt(0)
	global_atomic_cmpswap_x2 v[20:21], v3, v[18:21], s[34:35] offset:24 glc
	s_waitcnt vmcnt(0)
	v_cmp_ne_u64_e32 vcc, v[20:21], v[6:7]
	s_and_b64 exec, exec, vcc
	s_cbranch_execz .LBB5_1290
; %bb.1288:                             ;   in Loop: Header=BB5_278 Depth=1
	s_mov_b64 s[4:5], 0
.LBB5_1289:                             ;   Parent Loop BB5_278 Depth=1
                                        ; =>  This Inner Loop Header: Depth=2
	s_sleep 1
	global_store_dwordx2 v[0:1], v[20:21], off
	buffer_wbl2
	s_waitcnt vmcnt(0)
	global_atomic_cmpswap_x2 v[6:7], v3, v[18:21], s[34:35] offset:24 glc
	s_waitcnt vmcnt(0)
	v_cmp_eq_u64_e32 vcc, v[6:7], v[20:21]
	s_or_b64 s[4:5], vcc, s[4:5]
	v_pk_mov_b32 v[20:21], v[6:7], v[6:7] op_sel:[0,1]
	s_andn2_b64 exec, exec, s[4:5]
	s_cbranch_execnz .LBB5_1289
.LBB5_1290:                             ;   in Loop: Header=BB5_278 Depth=1
	s_or_b64 exec, exec, s[28:29]
.LBB5_1291:                             ;   in Loop: Header=BB5_278 Depth=1
	s_add_u32 s4, s50, s22
	s_addc_u32 s5, s51, s23
	global_load_dword v39, v3, s[4:5]
	v_readfirstlane_b32 s4, v51
	v_cmp_eq_u32_e64 s[4:5], s4, v51
	s_waitcnt vmcnt(1)
	v_pk_mov_b32 v[0:1], 0, 0
	s_and_saveexec_b64 s[22:23], s[4:5]
	s_cbranch_execz .LBB5_1297
; %bb.1292:                             ;   in Loop: Header=BB5_278 Depth=1
	global_load_dwordx2 v[20:21], v3, s[34:35] offset:24 glc
	s_waitcnt vmcnt(0)
	buffer_invl2
	buffer_wbinvl1_vol
	global_load_dwordx2 v[0:1], v3, s[34:35] offset:40
	global_load_dwordx2 v[6:7], v3, s[34:35]
	s_waitcnt vmcnt(1)
	v_and_b32_e32 v0, v0, v20
	v_and_b32_e32 v1, v1, v21
	v_mul_lo_u32 v1, v1, 24
	v_mul_hi_u32 v2, v0, 24
	v_mul_lo_u32 v0, v0, 24
	v_add_u32_e32 v1, v2, v1
	s_waitcnt vmcnt(0)
	v_add_co_u32_e32 v0, vcc, v6, v0
	v_addc_co_u32_e32 v1, vcc, v7, v1, vcc
	global_load_dwordx2 v[18:19], v[0:1], off glc
	s_waitcnt vmcnt(0)
	global_atomic_cmpswap_x2 v[0:1], v3, v[18:21], s[34:35] offset:24 glc
	s_waitcnt vmcnt(0)
	buffer_invl2
	buffer_wbinvl1_vol
	v_cmp_ne_u64_e32 vcc, v[0:1], v[20:21]
	s_and_saveexec_b64 s[24:25], vcc
	s_cbranch_execz .LBB5_1296
; %bb.1293:                             ;   in Loop: Header=BB5_278 Depth=1
	s_mov_b64 s[28:29], 0
.LBB5_1294:                             ;   Parent Loop BB5_278 Depth=1
                                        ; =>  This Inner Loop Header: Depth=2
	s_sleep 1
	global_load_dwordx2 v[6:7], v3, s[34:35] offset:40
	global_load_dwordx2 v[18:19], v3, s[34:35]
	v_pk_mov_b32 v[20:21], v[0:1], v[0:1] op_sel:[0,1]
	s_waitcnt vmcnt(1)
	v_and_b32_e32 v0, v6, v20
	s_waitcnt vmcnt(0)
	v_mad_u64_u32 v[0:1], s[30:31], v0, 24, v[18:19]
	v_and_b32_e32 v5, v7, v21
	v_mov_b32_e32 v2, v1
	v_mad_u64_u32 v[6:7], s[30:31], v5, 24, v[2:3]
	v_mov_b32_e32 v1, v6
	global_load_dwordx2 v[18:19], v[0:1], off glc
	s_waitcnt vmcnt(0)
	global_atomic_cmpswap_x2 v[0:1], v3, v[18:21], s[34:35] offset:24 glc
	s_waitcnt vmcnt(0)
	buffer_invl2
	buffer_wbinvl1_vol
	v_cmp_eq_u64_e32 vcc, v[0:1], v[20:21]
	s_or_b64 s[28:29], vcc, s[28:29]
	s_andn2_b64 exec, exec, s[28:29]
	s_cbranch_execnz .LBB5_1294
; %bb.1295:                             ;   in Loop: Header=BB5_278 Depth=1
	s_or_b64 exec, exec, s[28:29]
.LBB5_1296:                             ;   in Loop: Header=BB5_278 Depth=1
	s_or_b64 exec, exec, s[24:25]
.LBB5_1297:                             ;   in Loop: Header=BB5_278 Depth=1
	s_or_b64 exec, exec, s[22:23]
	global_load_dwordx2 v[6:7], v3, s[34:35] offset:40
	global_load_dwordx4 v[18:21], v3, s[34:35]
	v_readfirstlane_b32 s22, v0
	v_readfirstlane_b32 s23, v1
	s_mov_b64 s[24:25], exec
	s_waitcnt vmcnt(1)
	v_readfirstlane_b32 s28, v6
	v_readfirstlane_b32 s29, v7
	s_and_b64 s[28:29], s[22:23], s[28:29]
	s_mul_i32 s30, s29, 24
	s_mul_hi_u32 s31, s28, 24
	s_mul_i32 s52, s28, 24
	s_add_i32 s30, s31, s30
	v_mov_b32_e32 v1, s30
	s_waitcnt vmcnt(0)
	v_add_co_u32_e32 v0, vcc, s52, v18
	v_addc_co_u32_e32 v1, vcc, v19, v1, vcc
	s_and_saveexec_b64 s[30:31], s[4:5]
	s_cbranch_execz .LBB5_1299
; %bb.1298:                             ;   in Loop: Header=BB5_278 Depth=1
	v_pk_mov_b32 v[6:7], s[24:25], s[24:25] op_sel:[0,1]
	global_store_dwordx4 v[0:1], v[6:9], off offset:8
.LBB5_1299:                             ;   in Loop: Header=BB5_278 Depth=1
	s_or_b64 exec, exec, s[30:31]
	s_lshl_b64 s[24:25], s[28:29], 12
	v_mov_b32_e32 v2, s25
	v_add_co_u32_e32 v22, vcc, s24, v20
	v_addc_co_u32_e32 v23, vcc, v21, v2, vcc
	v_pk_mov_b32 v[26:27], s[10:11], s[10:11] op_sel:[0,1]
	v_mov_b32_e32 v5, v3
	v_mov_b32_e32 v6, v3
	;; [unrolled: 1-line block ×3, first 2 shown]
	v_readfirstlane_b32 s24, v22
	v_readfirstlane_b32 s25, v23
	v_pk_mov_b32 v[24:25], s[8:9], s[8:9] op_sel:[0,1]
	s_nop 3
	global_store_dwordx4 v50, v[4:7], s[24:25]
	global_store_dwordx4 v50, v[24:27], s[24:25] offset:16
	global_store_dwordx4 v50, v[24:27], s[24:25] offset:32
	;; [unrolled: 1-line block ×3, first 2 shown]
	s_and_saveexec_b64 s[24:25], s[4:5]
	s_cbranch_execz .LBB5_1307
; %bb.1300:                             ;   in Loop: Header=BB5_278 Depth=1
	global_load_dwordx2 v[26:27], v3, s[34:35] offset:32 glc
	global_load_dwordx2 v[6:7], v3, s[34:35] offset:40
	v_mov_b32_e32 v24, s22
	v_mov_b32_e32 v25, s23
	s_waitcnt vmcnt(0)
	v_readfirstlane_b32 s28, v6
	v_readfirstlane_b32 s29, v7
	s_and_b64 s[28:29], s[28:29], s[22:23]
	s_mul_i32 s29, s29, 24
	s_mul_hi_u32 s30, s28, 24
	s_mul_i32 s28, s28, 24
	s_add_i32 s29, s30, s29
	v_mov_b32_e32 v2, s29
	v_add_co_u32_e32 v6, vcc, s28, v18
	v_addc_co_u32_e32 v7, vcc, v19, v2, vcc
	global_store_dwordx2 v[6:7], v[26:27], off
	buffer_wbl2
	s_waitcnt vmcnt(0)
	global_atomic_cmpswap_x2 v[20:21], v3, v[24:27], s[34:35] offset:32 glc
	s_waitcnt vmcnt(0)
	v_cmp_ne_u64_e32 vcc, v[20:21], v[26:27]
	s_and_saveexec_b64 s[28:29], vcc
	s_cbranch_execz .LBB5_1303
; %bb.1301:                             ;   in Loop: Header=BB5_278 Depth=1
	s_mov_b64 s[30:31], 0
.LBB5_1302:                             ;   Parent Loop BB5_278 Depth=1
                                        ; =>  This Inner Loop Header: Depth=2
	s_sleep 1
	global_store_dwordx2 v[6:7], v[20:21], off
	v_mov_b32_e32 v18, s22
	v_mov_b32_e32 v19, s23
	buffer_wbl2
	s_waitcnt vmcnt(0)
	global_atomic_cmpswap_x2 v[18:19], v3, v[18:21], s[34:35] offset:32 glc
	s_waitcnt vmcnt(0)
	v_cmp_eq_u64_e32 vcc, v[18:19], v[20:21]
	s_or_b64 s[30:31], vcc, s[30:31]
	v_pk_mov_b32 v[20:21], v[18:19], v[18:19] op_sel:[0,1]
	s_andn2_b64 exec, exec, s[30:31]
	s_cbranch_execnz .LBB5_1302
.LBB5_1303:                             ;   in Loop: Header=BB5_278 Depth=1
	s_or_b64 exec, exec, s[28:29]
	global_load_dwordx2 v[6:7], v3, s[34:35] offset:16
	s_mov_b64 s[30:31], exec
	v_mbcnt_lo_u32_b32 v2, s30, 0
	v_mbcnt_hi_u32_b32 v2, s31, v2
	v_cmp_eq_u32_e32 vcc, 0, v2
	s_and_saveexec_b64 s[28:29], vcc
	s_cbranch_execz .LBB5_1305
; %bb.1304:                             ;   in Loop: Header=BB5_278 Depth=1
	s_bcnt1_i32_b64 s30, s[30:31]
	v_mov_b32_e32 v2, s30
	buffer_wbl2
	s_waitcnt vmcnt(0)
	global_atomic_add_x2 v[6:7], v[2:3], off offset:8
.LBB5_1305:                             ;   in Loop: Header=BB5_278 Depth=1
	s_or_b64 exec, exec, s[28:29]
	s_waitcnt vmcnt(0)
	global_load_dwordx2 v[18:19], v[6:7], off offset:16
	s_waitcnt vmcnt(0)
	v_cmp_eq_u64_e32 vcc, 0, v[18:19]
	s_cbranch_vccnz .LBB5_1307
; %bb.1306:                             ;   in Loop: Header=BB5_278 Depth=1
	global_load_dword v2, v[6:7], off offset:24
	buffer_wbl2
	s_waitcnt vmcnt(0)
	global_store_dwordx2 v[18:19], v[2:3], off
	v_and_b32_e32 v2, 0xffffff, v2
	v_readfirstlane_b32 m0, v2
	s_sendmsg sendmsg(MSG_INTERRUPT)
.LBB5_1307:                             ;   in Loop: Header=BB5_278 Depth=1
	s_or_b64 exec, exec, s[24:25]
	v_add_co_u32_e32 v6, vcc, v22, v50
	v_addc_co_u32_e32 v7, vcc, 0, v23, vcc
	s_branch .LBB5_1311
.LBB5_1308:                             ;   in Loop: Header=BB5_1311 Depth=2
	s_or_b64 exec, exec, s[24:25]
	v_readfirstlane_b32 s24, v2
	s_cmp_eq_u32 s24, 0
	s_cbranch_scc1 .LBB5_1310
; %bb.1309:                             ;   in Loop: Header=BB5_1311 Depth=2
	s_sleep 1
	s_cbranch_execnz .LBB5_1311
	s_branch .LBB5_1313
.LBB5_1310:                             ;   in Loop: Header=BB5_278 Depth=1
	s_branch .LBB5_1313
.LBB5_1311:                             ;   Parent Loop BB5_278 Depth=1
                                        ; =>  This Inner Loop Header: Depth=2
	v_mov_b32_e32 v2, 1
	s_and_saveexec_b64 s[24:25], s[4:5]
	s_cbranch_execz .LBB5_1308
; %bb.1312:                             ;   in Loop: Header=BB5_1311 Depth=2
	global_load_dword v2, v[0:1], off offset:20 glc
	s_waitcnt vmcnt(0)
	buffer_invl2
	buffer_wbinvl1_vol
	v_and_b32_e32 v2, 1, v2
	s_branch .LBB5_1308
.LBB5_1313:                             ;   in Loop: Header=BB5_278 Depth=1
	global_load_dwordx2 v[0:1], v[6:7], off
	s_and_saveexec_b64 s[24:25], s[4:5]
	s_cbranch_execz .LBB5_1317
; %bb.1314:                             ;   in Loop: Header=BB5_278 Depth=1
	global_load_dwordx2 v[6:7], v3, s[34:35] offset:40
	global_load_dwordx2 v[22:23], v3, s[34:35] offset:24 glc
	global_load_dwordx2 v[24:25], v3, s[34:35]
	v_mov_b32_e32 v2, s23
	s_waitcnt vmcnt(2)
	v_add_co_u32_e32 v5, vcc, 1, v6
	v_addc_co_u32_e32 v21, vcc, 0, v7, vcc
	v_add_co_u32_e32 v18, vcc, s22, v5
	v_addc_co_u32_e32 v19, vcc, v21, v2, vcc
	v_cmp_eq_u64_e32 vcc, 0, v[18:19]
	v_cndmask_b32_e32 v19, v19, v21, vcc
	v_cndmask_b32_e32 v18, v18, v5, vcc
	v_and_b32_e32 v2, v19, v7
	v_and_b32_e32 v5, v18, v6
	v_mul_lo_u32 v2, v2, 24
	v_mul_hi_u32 v6, v5, 24
	v_mul_lo_u32 v5, v5, 24
	v_add_u32_e32 v2, v6, v2
	s_waitcnt vmcnt(0)
	v_add_co_u32_e32 v6, vcc, v24, v5
	v_addc_co_u32_e32 v7, vcc, v25, v2, vcc
	v_mov_b32_e32 v20, v22
	global_store_dwordx2 v[6:7], v[22:23], off
	v_mov_b32_e32 v21, v23
	buffer_wbl2
	s_waitcnt vmcnt(0)
	global_atomic_cmpswap_x2 v[20:21], v3, v[18:21], s[34:35] offset:24 glc
	s_waitcnt vmcnt(0)
	v_cmp_ne_u64_e32 vcc, v[20:21], v[22:23]
	s_and_b64 exec, exec, vcc
	s_cbranch_execz .LBB5_1317
; %bb.1315:                             ;   in Loop: Header=BB5_278 Depth=1
	s_mov_b64 s[4:5], 0
.LBB5_1316:                             ;   Parent Loop BB5_278 Depth=1
                                        ; =>  This Inner Loop Header: Depth=2
	s_sleep 1
	global_store_dwordx2 v[6:7], v[20:21], off
	buffer_wbl2
	s_waitcnt vmcnt(0)
	global_atomic_cmpswap_x2 v[22:23], v3, v[18:21], s[34:35] offset:24 glc
	s_waitcnt vmcnt(0)
	v_cmp_eq_u64_e32 vcc, v[22:23], v[20:21]
	s_or_b64 s[4:5], vcc, s[4:5]
	v_pk_mov_b32 v[20:21], v[22:23], v[22:23] op_sel:[0,1]
	s_andn2_b64 exec, exec, s[4:5]
	s_cbranch_execnz .LBB5_1316
.LBB5_1317:                             ;   in Loop: Header=BB5_278 Depth=1
	s_or_b64 exec, exec, s[24:25]
	s_and_b64 vcc, exec, s[16:17]
	s_cbranch_vccz .LBB5_1402
; %bb.1318:                             ;   in Loop: Header=BB5_278 Depth=1
	s_waitcnt vmcnt(0)
	v_and_b32_e32 v38, 2, v0
	v_and_b32_e32 v18, -3, v0
	v_mov_b32_e32 v19, v1
	s_mov_b64 s[24:25], 3
	s_getpc_b64 s[22:23]
	s_add_u32 s22, s22, .str.7@rel32@lo+4
	s_addc_u32 s23, s23, .str.7@rel32@hi+12
	s_branch .LBB5_1320
.LBB5_1319:                             ;   in Loop: Header=BB5_1320 Depth=2
	s_or_b64 exec, exec, s[52:53]
	s_sub_u32 s24, s24, s28
	s_subb_u32 s25, s25, s29
	s_add_u32 s22, s22, s28
	s_addc_u32 s23, s23, s29
	s_cmp_lg_u64 s[24:25], 0
	s_cbranch_scc0 .LBB5_1401
.LBB5_1320:                             ;   Parent Loop BB5_278 Depth=1
                                        ; =>  This Loop Header: Depth=2
                                        ;       Child Loop BB5_1323 Depth 3
                                        ;       Child Loop BB5_1330 Depth 3
	;; [unrolled: 1-line block ×11, first 2 shown]
	v_cmp_lt_u64_e64 s[4:5], s[24:25], 56
	s_and_b64 s[4:5], s[4:5], exec
	v_cmp_gt_u64_e64 s[4:5], s[24:25], 7
	s_cselect_b32 s29, s25, 0
	s_cselect_b32 s28, s24, 56
	s_and_b64 vcc, exec, s[4:5]
	s_cbranch_vccnz .LBB5_1325
; %bb.1321:                             ;   in Loop: Header=BB5_1320 Depth=2
	s_mov_b64 s[4:5], 0
	s_cmp_eq_u64 s[24:25], 0
	s_waitcnt vmcnt(0)
	v_pk_mov_b32 v[20:21], 0, 0
	s_cbranch_scc1 .LBB5_1324
; %bb.1322:                             ;   in Loop: Header=BB5_1320 Depth=2
	s_lshl_b64 s[30:31], s[28:29], 3
	s_mov_b64 s[52:53], 0
	v_pk_mov_b32 v[20:21], 0, 0
	s_mov_b64 s[54:55], s[22:23]
.LBB5_1323:                             ;   Parent Loop BB5_278 Depth=1
                                        ;     Parent Loop BB5_1320 Depth=2
                                        ; =>    This Inner Loop Header: Depth=3
	global_load_ubyte v2, v3, s[54:55]
	s_waitcnt vmcnt(0)
	v_and_b32_e32 v2, 0xffff, v2
	v_lshlrev_b64 v[6:7], s52, v[2:3]
	s_add_u32 s52, s52, 8
	s_addc_u32 s53, s53, 0
	s_add_u32 s54, s54, 1
	s_addc_u32 s55, s55, 0
	v_or_b32_e32 v20, v6, v20
	s_cmp_lg_u32 s30, s52
	v_or_b32_e32 v21, v7, v21
	s_cbranch_scc1 .LBB5_1323
.LBB5_1324:                             ;   in Loop: Header=BB5_1320 Depth=2
	s_mov_b32 s54, 0
	s_andn2_b64 vcc, exec, s[4:5]
	s_mov_b64 s[4:5], s[22:23]
	s_cbranch_vccz .LBB5_1326
	s_branch .LBB5_1327
.LBB5_1325:                             ;   in Loop: Header=BB5_1320 Depth=2
                                        ; implicit-def: $vgpr20_vgpr21
                                        ; implicit-def: $sgpr54
	s_mov_b64 s[4:5], s[22:23]
.LBB5_1326:                             ;   in Loop: Header=BB5_1320 Depth=2
	global_load_dwordx2 v[20:21], v3, s[22:23]
	s_add_i32 s54, s28, -8
	s_add_u32 s4, s22, 8
	s_addc_u32 s5, s23, 0
.LBB5_1327:                             ;   in Loop: Header=BB5_1320 Depth=2
	s_cmp_gt_u32 s54, 7
	s_cbranch_scc1 .LBB5_1331
; %bb.1328:                             ;   in Loop: Header=BB5_1320 Depth=2
	s_cmp_eq_u32 s54, 0
	s_cbranch_scc1 .LBB5_1332
; %bb.1329:                             ;   in Loop: Header=BB5_1320 Depth=2
	s_mov_b64 s[30:31], 0
	v_pk_mov_b32 v[22:23], 0, 0
	s_mov_b64 s[52:53], 0
.LBB5_1330:                             ;   Parent Loop BB5_278 Depth=1
                                        ;     Parent Loop BB5_1320 Depth=2
                                        ; =>    This Inner Loop Header: Depth=3
	s_add_u32 s56, s4, s52
	s_addc_u32 s57, s5, s53
	global_load_ubyte v2, v3, s[56:57]
	s_add_u32 s52, s52, 1
	s_addc_u32 s53, s53, 0
	s_waitcnt vmcnt(0)
	v_and_b32_e32 v2, 0xffff, v2
	v_lshlrev_b64 v[6:7], s30, v[2:3]
	s_add_u32 s30, s30, 8
	s_addc_u32 s31, s31, 0
	v_or_b32_e32 v22, v6, v22
	s_cmp_lg_u32 s54, s52
	v_or_b32_e32 v23, v7, v23
	s_cbranch_scc1 .LBB5_1330
	s_branch .LBB5_1333
.LBB5_1331:                             ;   in Loop: Header=BB5_1320 Depth=2
                                        ; implicit-def: $vgpr22_vgpr23
                                        ; implicit-def: $sgpr55
	s_branch .LBB5_1334
.LBB5_1332:                             ;   in Loop: Header=BB5_1320 Depth=2
	v_pk_mov_b32 v[22:23], 0, 0
.LBB5_1333:                             ;   in Loop: Header=BB5_1320 Depth=2
	s_mov_b32 s55, 0
	s_cbranch_execnz .LBB5_1335
.LBB5_1334:                             ;   in Loop: Header=BB5_1320 Depth=2
	global_load_dwordx2 v[22:23], v3, s[4:5]
	s_add_i32 s55, s54, -8
	s_add_u32 s4, s4, 8
	s_addc_u32 s5, s5, 0
.LBB5_1335:                             ;   in Loop: Header=BB5_1320 Depth=2
	s_cmp_gt_u32 s55, 7
	s_cbranch_scc1 .LBB5_1339
; %bb.1336:                             ;   in Loop: Header=BB5_1320 Depth=2
	s_cmp_eq_u32 s55, 0
	s_cbranch_scc1 .LBB5_1340
; %bb.1337:                             ;   in Loop: Header=BB5_1320 Depth=2
	s_mov_b64 s[30:31], 0
	v_pk_mov_b32 v[24:25], 0, 0
	s_mov_b64 s[52:53], 0
.LBB5_1338:                             ;   Parent Loop BB5_278 Depth=1
                                        ;     Parent Loop BB5_1320 Depth=2
                                        ; =>    This Inner Loop Header: Depth=3
	s_add_u32 s56, s4, s52
	s_addc_u32 s57, s5, s53
	global_load_ubyte v2, v3, s[56:57]
	s_add_u32 s52, s52, 1
	s_addc_u32 s53, s53, 0
	s_waitcnt vmcnt(0)
	v_and_b32_e32 v2, 0xffff, v2
	v_lshlrev_b64 v[6:7], s30, v[2:3]
	s_add_u32 s30, s30, 8
	s_addc_u32 s31, s31, 0
	v_or_b32_e32 v24, v6, v24
	s_cmp_lg_u32 s55, s52
	v_or_b32_e32 v25, v7, v25
	s_cbranch_scc1 .LBB5_1338
	s_branch .LBB5_1341
.LBB5_1339:                             ;   in Loop: Header=BB5_1320 Depth=2
                                        ; implicit-def: $sgpr54
	s_branch .LBB5_1342
.LBB5_1340:                             ;   in Loop: Header=BB5_1320 Depth=2
	v_pk_mov_b32 v[24:25], 0, 0
.LBB5_1341:                             ;   in Loop: Header=BB5_1320 Depth=2
	s_mov_b32 s54, 0
	s_cbranch_execnz .LBB5_1343
.LBB5_1342:                             ;   in Loop: Header=BB5_1320 Depth=2
	global_load_dwordx2 v[24:25], v3, s[4:5]
	s_add_i32 s54, s55, -8
	s_add_u32 s4, s4, 8
	s_addc_u32 s5, s5, 0
.LBB5_1343:                             ;   in Loop: Header=BB5_1320 Depth=2
	s_cmp_gt_u32 s54, 7
	s_cbranch_scc1 .LBB5_1347
; %bb.1344:                             ;   in Loop: Header=BB5_1320 Depth=2
	s_cmp_eq_u32 s54, 0
	s_cbranch_scc1 .LBB5_1348
; %bb.1345:                             ;   in Loop: Header=BB5_1320 Depth=2
	s_mov_b64 s[30:31], 0
	v_pk_mov_b32 v[26:27], 0, 0
	s_mov_b64 s[52:53], 0
.LBB5_1346:                             ;   Parent Loop BB5_278 Depth=1
                                        ;     Parent Loop BB5_1320 Depth=2
                                        ; =>    This Inner Loop Header: Depth=3
	s_add_u32 s56, s4, s52
	s_addc_u32 s57, s5, s53
	global_load_ubyte v2, v3, s[56:57]
	s_add_u32 s52, s52, 1
	s_addc_u32 s53, s53, 0
	s_waitcnt vmcnt(0)
	v_and_b32_e32 v2, 0xffff, v2
	v_lshlrev_b64 v[6:7], s30, v[2:3]
	s_add_u32 s30, s30, 8
	s_addc_u32 s31, s31, 0
	v_or_b32_e32 v26, v6, v26
	s_cmp_lg_u32 s54, s52
	v_or_b32_e32 v27, v7, v27
	s_cbranch_scc1 .LBB5_1346
	s_branch .LBB5_1349
.LBB5_1347:                             ;   in Loop: Header=BB5_1320 Depth=2
                                        ; implicit-def: $vgpr26_vgpr27
                                        ; implicit-def: $sgpr55
	s_branch .LBB5_1350
.LBB5_1348:                             ;   in Loop: Header=BB5_1320 Depth=2
	v_pk_mov_b32 v[26:27], 0, 0
.LBB5_1349:                             ;   in Loop: Header=BB5_1320 Depth=2
	s_mov_b32 s55, 0
	s_cbranch_execnz .LBB5_1351
.LBB5_1350:                             ;   in Loop: Header=BB5_1320 Depth=2
	global_load_dwordx2 v[26:27], v3, s[4:5]
	s_add_i32 s55, s54, -8
	s_add_u32 s4, s4, 8
	s_addc_u32 s5, s5, 0
.LBB5_1351:                             ;   in Loop: Header=BB5_1320 Depth=2
	s_cmp_gt_u32 s55, 7
	s_cbranch_scc1 .LBB5_1355
; %bb.1352:                             ;   in Loop: Header=BB5_1320 Depth=2
	s_cmp_eq_u32 s55, 0
	s_cbranch_scc1 .LBB5_1356
; %bb.1353:                             ;   in Loop: Header=BB5_1320 Depth=2
	s_mov_b64 s[30:31], 0
	v_pk_mov_b32 v[28:29], 0, 0
	s_mov_b64 s[52:53], 0
.LBB5_1354:                             ;   Parent Loop BB5_278 Depth=1
                                        ;     Parent Loop BB5_1320 Depth=2
                                        ; =>    This Inner Loop Header: Depth=3
	s_add_u32 s56, s4, s52
	s_addc_u32 s57, s5, s53
	global_load_ubyte v2, v3, s[56:57]
	s_add_u32 s52, s52, 1
	s_addc_u32 s53, s53, 0
	s_waitcnt vmcnt(0)
	v_and_b32_e32 v2, 0xffff, v2
	v_lshlrev_b64 v[6:7], s30, v[2:3]
	s_add_u32 s30, s30, 8
	s_addc_u32 s31, s31, 0
	v_or_b32_e32 v28, v6, v28
	s_cmp_lg_u32 s55, s52
	v_or_b32_e32 v29, v7, v29
	s_cbranch_scc1 .LBB5_1354
	s_branch .LBB5_1357
.LBB5_1355:                             ;   in Loop: Header=BB5_1320 Depth=2
                                        ; implicit-def: $sgpr54
	s_branch .LBB5_1358
.LBB5_1356:                             ;   in Loop: Header=BB5_1320 Depth=2
	v_pk_mov_b32 v[28:29], 0, 0
.LBB5_1357:                             ;   in Loop: Header=BB5_1320 Depth=2
	s_mov_b32 s54, 0
	s_cbranch_execnz .LBB5_1359
.LBB5_1358:                             ;   in Loop: Header=BB5_1320 Depth=2
	global_load_dwordx2 v[28:29], v3, s[4:5]
	s_add_i32 s54, s55, -8
	s_add_u32 s4, s4, 8
	s_addc_u32 s5, s5, 0
.LBB5_1359:                             ;   in Loop: Header=BB5_1320 Depth=2
	s_cmp_gt_u32 s54, 7
	s_cbranch_scc1 .LBB5_1363
; %bb.1360:                             ;   in Loop: Header=BB5_1320 Depth=2
	s_cmp_eq_u32 s54, 0
	s_cbranch_scc1 .LBB5_1364
; %bb.1361:                             ;   in Loop: Header=BB5_1320 Depth=2
	s_mov_b64 s[30:31], 0
	v_pk_mov_b32 v[30:31], 0, 0
	s_mov_b64 s[52:53], 0
.LBB5_1362:                             ;   Parent Loop BB5_278 Depth=1
                                        ;     Parent Loop BB5_1320 Depth=2
                                        ; =>    This Inner Loop Header: Depth=3
	s_add_u32 s56, s4, s52
	s_addc_u32 s57, s5, s53
	global_load_ubyte v2, v3, s[56:57]
	s_add_u32 s52, s52, 1
	s_addc_u32 s53, s53, 0
	s_waitcnt vmcnt(0)
	v_and_b32_e32 v2, 0xffff, v2
	v_lshlrev_b64 v[6:7], s30, v[2:3]
	s_add_u32 s30, s30, 8
	s_addc_u32 s31, s31, 0
	v_or_b32_e32 v30, v6, v30
	s_cmp_lg_u32 s54, s52
	v_or_b32_e32 v31, v7, v31
	s_cbranch_scc1 .LBB5_1362
	s_branch .LBB5_1365
.LBB5_1363:                             ;   in Loop: Header=BB5_1320 Depth=2
                                        ; implicit-def: $vgpr30_vgpr31
                                        ; implicit-def: $sgpr55
	s_branch .LBB5_1366
.LBB5_1364:                             ;   in Loop: Header=BB5_1320 Depth=2
	v_pk_mov_b32 v[30:31], 0, 0
.LBB5_1365:                             ;   in Loop: Header=BB5_1320 Depth=2
	s_mov_b32 s55, 0
	s_cbranch_execnz .LBB5_1367
.LBB5_1366:                             ;   in Loop: Header=BB5_1320 Depth=2
	global_load_dwordx2 v[30:31], v3, s[4:5]
	s_add_i32 s55, s54, -8
	s_add_u32 s4, s4, 8
	s_addc_u32 s5, s5, 0
.LBB5_1367:                             ;   in Loop: Header=BB5_1320 Depth=2
	s_cmp_gt_u32 s55, 7
	s_cbranch_scc1 .LBB5_1371
; %bb.1368:                             ;   in Loop: Header=BB5_1320 Depth=2
	s_cmp_eq_u32 s55, 0
	s_cbranch_scc1 .LBB5_1372
; %bb.1369:                             ;   in Loop: Header=BB5_1320 Depth=2
	s_mov_b64 s[30:31], 0
	v_pk_mov_b32 v[32:33], 0, 0
	s_mov_b64 s[52:53], s[4:5]
.LBB5_1370:                             ;   Parent Loop BB5_278 Depth=1
                                        ;     Parent Loop BB5_1320 Depth=2
                                        ; =>    This Inner Loop Header: Depth=3
	global_load_ubyte v2, v3, s[52:53]
	s_add_i32 s55, s55, -1
	s_waitcnt vmcnt(0)
	v_and_b32_e32 v2, 0xffff, v2
	v_lshlrev_b64 v[6:7], s30, v[2:3]
	s_add_u32 s30, s30, 8
	s_addc_u32 s31, s31, 0
	s_add_u32 s52, s52, 1
	s_addc_u32 s53, s53, 0
	v_or_b32_e32 v32, v6, v32
	s_cmp_lg_u32 s55, 0
	v_or_b32_e32 v33, v7, v33
	s_cbranch_scc1 .LBB5_1370
	s_branch .LBB5_1373
.LBB5_1371:                             ;   in Loop: Header=BB5_1320 Depth=2
	s_branch .LBB5_1374
.LBB5_1372:                             ;   in Loop: Header=BB5_1320 Depth=2
	v_pk_mov_b32 v[32:33], 0, 0
.LBB5_1373:                             ;   in Loop: Header=BB5_1320 Depth=2
	s_cbranch_execnz .LBB5_1375
.LBB5_1374:                             ;   in Loop: Header=BB5_1320 Depth=2
	global_load_dwordx2 v[32:33], v3, s[4:5]
.LBB5_1375:                             ;   in Loop: Header=BB5_1320 Depth=2
	v_readfirstlane_b32 s4, v51
	v_cmp_eq_u32_e64 s[4:5], s4, v51
	v_pk_mov_b32 v[6:7], 0, 0
	s_and_saveexec_b64 s[30:31], s[4:5]
	s_cbranch_execz .LBB5_1381
; %bb.1376:                             ;   in Loop: Header=BB5_1320 Depth=2
	global_load_dwordx2 v[36:37], v3, s[34:35] offset:24 glc
	s_waitcnt vmcnt(0)
	buffer_invl2
	buffer_wbinvl1_vol
	global_load_dwordx2 v[6:7], v3, s[34:35] offset:40
	global_load_dwordx2 v[34:35], v3, s[34:35]
	s_waitcnt vmcnt(1)
	v_and_b32_e32 v2, v6, v36
	v_and_b32_e32 v5, v7, v37
	v_mul_lo_u32 v5, v5, 24
	v_mul_hi_u32 v6, v2, 24
	v_mul_lo_u32 v2, v2, 24
	v_add_u32_e32 v5, v6, v5
	s_waitcnt vmcnt(0)
	v_add_co_u32_e32 v6, vcc, v34, v2
	v_addc_co_u32_e32 v7, vcc, v35, v5, vcc
	global_load_dwordx2 v[34:35], v[6:7], off glc
	s_waitcnt vmcnt(0)
	global_atomic_cmpswap_x2 v[6:7], v3, v[34:37], s[34:35] offset:24 glc
	s_waitcnt vmcnt(0)
	buffer_invl2
	buffer_wbinvl1_vol
	v_cmp_ne_u64_e32 vcc, v[6:7], v[36:37]
	s_and_saveexec_b64 s[52:53], vcc
	s_cbranch_execz .LBB5_1380
; %bb.1377:                             ;   in Loop: Header=BB5_1320 Depth=2
	s_mov_b64 s[54:55], 0
.LBB5_1378:                             ;   Parent Loop BB5_278 Depth=1
                                        ;     Parent Loop BB5_1320 Depth=2
                                        ; =>    This Inner Loop Header: Depth=3
	s_sleep 1
	global_load_dwordx2 v[34:35], v3, s[34:35] offset:40
	global_load_dwordx2 v[40:41], v3, s[34:35]
	v_pk_mov_b32 v[36:37], v[6:7], v[6:7] op_sel:[0,1]
	s_waitcnt vmcnt(1)
	v_and_b32_e32 v2, v34, v36
	s_waitcnt vmcnt(0)
	v_mad_u64_u32 v[6:7], s[56:57], v2, 24, v[40:41]
	v_and_b32_e32 v5, v35, v37
	v_mov_b32_e32 v2, v7
	v_mad_u64_u32 v[34:35], s[56:57], v5, 24, v[2:3]
	v_mov_b32_e32 v7, v34
	global_load_dwordx2 v[34:35], v[6:7], off glc
	s_waitcnt vmcnt(0)
	global_atomic_cmpswap_x2 v[6:7], v3, v[34:37], s[34:35] offset:24 glc
	s_waitcnt vmcnt(0)
	buffer_invl2
	buffer_wbinvl1_vol
	v_cmp_eq_u64_e32 vcc, v[6:7], v[36:37]
	s_or_b64 s[54:55], vcc, s[54:55]
	s_andn2_b64 exec, exec, s[54:55]
	s_cbranch_execnz .LBB5_1378
; %bb.1379:                             ;   in Loop: Header=BB5_1320 Depth=2
	s_or_b64 exec, exec, s[54:55]
.LBB5_1380:                             ;   in Loop: Header=BB5_1320 Depth=2
	s_or_b64 exec, exec, s[52:53]
.LBB5_1381:                             ;   in Loop: Header=BB5_1320 Depth=2
	s_or_b64 exec, exec, s[30:31]
	global_load_dwordx2 v[40:41], v3, s[34:35] offset:40
	global_load_dwordx4 v[34:37], v3, s[34:35]
	v_readfirstlane_b32 s30, v6
	v_readfirstlane_b32 s31, v7
	s_mov_b64 s[52:53], exec
	s_waitcnt vmcnt(1)
	v_readfirstlane_b32 s54, v40
	v_readfirstlane_b32 s55, v41
	s_and_b64 s[54:55], s[30:31], s[54:55]
	s_mul_i32 s56, s55, 24
	s_mul_hi_u32 s57, s54, 24
	s_mul_i32 s58, s54, 24
	s_add_i32 s56, s57, s56
	v_mov_b32_e32 v2, s56
	s_waitcnt vmcnt(0)
	v_add_co_u32_e32 v40, vcc, s58, v34
	v_addc_co_u32_e32 v41, vcc, v35, v2, vcc
	s_and_saveexec_b64 s[56:57], s[4:5]
	s_cbranch_execz .LBB5_1383
; %bb.1382:                             ;   in Loop: Header=BB5_1320 Depth=2
	v_pk_mov_b32 v[6:7], s[52:53], s[52:53] op_sel:[0,1]
	global_store_dwordx4 v[40:41], v[6:9], off offset:8
.LBB5_1383:                             ;   in Loop: Header=BB5_1320 Depth=2
	s_or_b64 exec, exec, s[56:57]
	s_lshl_b64 s[52:53], s[54:55], 12
	v_mov_b32_e32 v2, s53
	v_add_co_u32_e32 v6, vcc, s52, v36
	v_addc_co_u32_e32 v5, vcc, v37, v2, vcc
	v_or_b32_e32 v2, 0, v19
	v_or_b32_e32 v7, v18, v38
	v_cmp_gt_u64_e64 vcc, s[24:25], 56
	s_lshl_b32 s52, s28, 2
	v_cndmask_b32_e32 v19, v2, v19, vcc
	v_cndmask_b32_e32 v2, v7, v18, vcc
	s_add_i32 s52, s52, 28
	s_and_b32 s52, s52, 0x1e0
	v_and_b32_e32 v2, 0xffffff1f, v2
	v_or_b32_e32 v18, s52, v2
	v_readfirstlane_b32 s52, v6
	v_readfirstlane_b32 s53, v5
	s_nop 4
	global_store_dwordx4 v50, v[18:21], s[52:53]
	global_store_dwordx4 v50, v[22:25], s[52:53] offset:16
	global_store_dwordx4 v50, v[26:29], s[52:53] offset:32
	;; [unrolled: 1-line block ×3, first 2 shown]
	s_and_saveexec_b64 s[52:53], s[4:5]
	s_cbranch_execz .LBB5_1391
; %bb.1384:                             ;   in Loop: Header=BB5_1320 Depth=2
	global_load_dwordx2 v[26:27], v3, s[34:35] offset:32 glc
	global_load_dwordx2 v[18:19], v3, s[34:35] offset:40
	v_mov_b32_e32 v24, s30
	v_mov_b32_e32 v25, s31
	s_waitcnt vmcnt(0)
	v_readfirstlane_b32 s54, v18
	v_readfirstlane_b32 s55, v19
	s_and_b64 s[54:55], s[54:55], s[30:31]
	s_mul_i32 s55, s55, 24
	s_mul_hi_u32 s56, s54, 24
	s_mul_i32 s54, s54, 24
	s_add_i32 s55, s56, s55
	v_mov_b32_e32 v2, s55
	v_add_co_u32_e32 v22, vcc, s54, v34
	v_addc_co_u32_e32 v23, vcc, v35, v2, vcc
	global_store_dwordx2 v[22:23], v[26:27], off
	buffer_wbl2
	s_waitcnt vmcnt(0)
	global_atomic_cmpswap_x2 v[20:21], v3, v[24:27], s[34:35] offset:32 glc
	s_waitcnt vmcnt(0)
	v_cmp_ne_u64_e32 vcc, v[20:21], v[26:27]
	s_and_saveexec_b64 s[54:55], vcc
	s_cbranch_execz .LBB5_1387
; %bb.1385:                             ;   in Loop: Header=BB5_1320 Depth=2
	s_mov_b64 s[56:57], 0
.LBB5_1386:                             ;   Parent Loop BB5_278 Depth=1
                                        ;     Parent Loop BB5_1320 Depth=2
                                        ; =>    This Inner Loop Header: Depth=3
	s_sleep 1
	global_store_dwordx2 v[22:23], v[20:21], off
	v_mov_b32_e32 v18, s30
	v_mov_b32_e32 v19, s31
	buffer_wbl2
	s_waitcnt vmcnt(0)
	global_atomic_cmpswap_x2 v[18:19], v3, v[18:21], s[34:35] offset:32 glc
	s_waitcnt vmcnt(0)
	v_cmp_eq_u64_e32 vcc, v[18:19], v[20:21]
	s_or_b64 s[56:57], vcc, s[56:57]
	v_pk_mov_b32 v[20:21], v[18:19], v[18:19] op_sel:[0,1]
	s_andn2_b64 exec, exec, s[56:57]
	s_cbranch_execnz .LBB5_1386
.LBB5_1387:                             ;   in Loop: Header=BB5_1320 Depth=2
	s_or_b64 exec, exec, s[54:55]
	global_load_dwordx2 v[18:19], v3, s[34:35] offset:16
	s_mov_b64 s[56:57], exec
	v_mbcnt_lo_u32_b32 v2, s56, 0
	v_mbcnt_hi_u32_b32 v2, s57, v2
	v_cmp_eq_u32_e32 vcc, 0, v2
	s_and_saveexec_b64 s[54:55], vcc
	s_cbranch_execz .LBB5_1389
; %bb.1388:                             ;   in Loop: Header=BB5_1320 Depth=2
	s_bcnt1_i32_b64 s56, s[56:57]
	v_mov_b32_e32 v2, s56
	buffer_wbl2
	s_waitcnt vmcnt(0)
	global_atomic_add_x2 v[18:19], v[2:3], off offset:8
.LBB5_1389:                             ;   in Loop: Header=BB5_1320 Depth=2
	s_or_b64 exec, exec, s[54:55]
	s_waitcnt vmcnt(0)
	global_load_dwordx2 v[20:21], v[18:19], off offset:16
	s_waitcnt vmcnt(0)
	v_cmp_eq_u64_e32 vcc, 0, v[20:21]
	s_cbranch_vccnz .LBB5_1391
; %bb.1390:                             ;   in Loop: Header=BB5_1320 Depth=2
	global_load_dword v2, v[18:19], off offset:24
	buffer_wbl2
	s_waitcnt vmcnt(0)
	global_store_dwordx2 v[20:21], v[2:3], off
	v_and_b32_e32 v2, 0xffffff, v2
	v_readfirstlane_b32 m0, v2
	s_sendmsg sendmsg(MSG_INTERRUPT)
.LBB5_1391:                             ;   in Loop: Header=BB5_1320 Depth=2
	s_or_b64 exec, exec, s[52:53]
	v_add_co_u32_e32 v6, vcc, v6, v50
	v_addc_co_u32_e32 v7, vcc, 0, v5, vcc
	s_branch .LBB5_1395
.LBB5_1392:                             ;   in Loop: Header=BB5_1395 Depth=3
	s_or_b64 exec, exec, s[52:53]
	v_readfirstlane_b32 s52, v2
	s_cmp_eq_u32 s52, 0
	s_cbranch_scc1 .LBB5_1394
; %bb.1393:                             ;   in Loop: Header=BB5_1395 Depth=3
	s_sleep 1
	s_cbranch_execnz .LBB5_1395
	s_branch .LBB5_1397
.LBB5_1394:                             ;   in Loop: Header=BB5_1320 Depth=2
	s_branch .LBB5_1397
.LBB5_1395:                             ;   Parent Loop BB5_278 Depth=1
                                        ;     Parent Loop BB5_1320 Depth=2
                                        ; =>    This Inner Loop Header: Depth=3
	v_mov_b32_e32 v2, 1
	s_and_saveexec_b64 s[52:53], s[4:5]
	s_cbranch_execz .LBB5_1392
; %bb.1396:                             ;   in Loop: Header=BB5_1395 Depth=3
	global_load_dword v2, v[40:41], off offset:20 glc
	s_waitcnt vmcnt(0)
	buffer_invl2
	buffer_wbinvl1_vol
	v_and_b32_e32 v2, 1, v2
	s_branch .LBB5_1392
.LBB5_1397:                             ;   in Loop: Header=BB5_1320 Depth=2
	global_load_dwordx4 v[18:21], v[6:7], off
	s_and_saveexec_b64 s[52:53], s[4:5]
	s_cbranch_execz .LBB5_1319
; %bb.1398:                             ;   in Loop: Header=BB5_1320 Depth=2
	global_load_dwordx2 v[6:7], v3, s[34:35] offset:40
	global_load_dwordx2 v[24:25], v3, s[34:35] offset:24 glc
	global_load_dwordx2 v[26:27], v3, s[34:35]
	v_mov_b32_e32 v2, s31
	s_waitcnt vmcnt(2)
	v_add_co_u32_e32 v5, vcc, 1, v6
	v_addc_co_u32_e32 v23, vcc, 0, v7, vcc
	v_add_co_u32_e32 v20, vcc, s30, v5
	v_addc_co_u32_e32 v21, vcc, v23, v2, vcc
	v_cmp_eq_u64_e32 vcc, 0, v[20:21]
	v_cndmask_b32_e32 v21, v21, v23, vcc
	v_cndmask_b32_e32 v20, v20, v5, vcc
	v_and_b32_e32 v2, v21, v7
	v_and_b32_e32 v5, v20, v6
	v_mul_lo_u32 v2, v2, 24
	v_mul_hi_u32 v6, v5, 24
	v_mul_lo_u32 v5, v5, 24
	v_add_u32_e32 v2, v6, v2
	s_waitcnt vmcnt(0)
	v_add_co_u32_e32 v6, vcc, v26, v5
	v_addc_co_u32_e32 v7, vcc, v27, v2, vcc
	v_mov_b32_e32 v22, v24
	global_store_dwordx2 v[6:7], v[24:25], off
	v_mov_b32_e32 v23, v25
	buffer_wbl2
	s_waitcnt vmcnt(0)
	global_atomic_cmpswap_x2 v[22:23], v3, v[20:23], s[34:35] offset:24 glc
	s_waitcnt vmcnt(0)
	v_cmp_ne_u64_e32 vcc, v[22:23], v[24:25]
	s_and_b64 exec, exec, vcc
	s_cbranch_execz .LBB5_1319
; %bb.1399:                             ;   in Loop: Header=BB5_1320 Depth=2
	s_mov_b64 s[4:5], 0
.LBB5_1400:                             ;   Parent Loop BB5_278 Depth=1
                                        ;     Parent Loop BB5_1320 Depth=2
                                        ; =>    This Inner Loop Header: Depth=3
	s_sleep 1
	global_store_dwordx2 v[6:7], v[22:23], off
	buffer_wbl2
	s_waitcnt vmcnt(0)
	global_atomic_cmpswap_x2 v[24:25], v3, v[20:23], s[34:35] offset:24 glc
	s_waitcnt vmcnt(0)
	v_cmp_eq_u64_e32 vcc, v[24:25], v[22:23]
	s_or_b64 s[4:5], vcc, s[4:5]
	v_pk_mov_b32 v[22:23], v[24:25], v[24:25] op_sel:[0,1]
	s_andn2_b64 exec, exec, s[4:5]
	s_cbranch_execnz .LBB5_1400
	s_branch .LBB5_1319
.LBB5_1401:                             ;   in Loop: Header=BB5_278 Depth=1
	s_branch .LBB5_1430
.LBB5_1402:                             ;   in Loop: Header=BB5_278 Depth=1
                                        ; implicit-def: $vgpr18_vgpr19
	s_cbranch_execz .LBB5_1430
; %bb.1403:                             ;   in Loop: Header=BB5_278 Depth=1
	v_readfirstlane_b32 s4, v51
	v_cmp_eq_u32_e64 s[4:5], s4, v51
	v_pk_mov_b32 v[6:7], 0, 0
	s_and_saveexec_b64 s[22:23], s[4:5]
	s_cbranch_execz .LBB5_1409
; %bb.1404:                             ;   in Loop: Header=BB5_278 Depth=1
	global_load_dwordx2 v[20:21], v3, s[34:35] offset:24 glc
	s_waitcnt vmcnt(0)
	buffer_invl2
	buffer_wbinvl1_vol
	global_load_dwordx2 v[6:7], v3, s[34:35] offset:40
	global_load_dwordx2 v[18:19], v3, s[34:35]
	s_waitcnt vmcnt(1)
	v_and_b32_e32 v2, v6, v20
	v_and_b32_e32 v5, v7, v21
	v_mul_lo_u32 v5, v5, 24
	v_mul_hi_u32 v6, v2, 24
	v_mul_lo_u32 v2, v2, 24
	v_add_u32_e32 v5, v6, v5
	s_waitcnt vmcnt(0)
	v_add_co_u32_e32 v6, vcc, v18, v2
	v_addc_co_u32_e32 v7, vcc, v19, v5, vcc
	global_load_dwordx2 v[18:19], v[6:7], off glc
	s_waitcnt vmcnt(0)
	global_atomic_cmpswap_x2 v[6:7], v3, v[18:21], s[34:35] offset:24 glc
	s_waitcnt vmcnt(0)
	buffer_invl2
	buffer_wbinvl1_vol
	v_cmp_ne_u64_e32 vcc, v[6:7], v[20:21]
	s_and_saveexec_b64 s[24:25], vcc
	s_cbranch_execz .LBB5_1408
; %bb.1405:                             ;   in Loop: Header=BB5_278 Depth=1
	s_mov_b64 s[28:29], 0
.LBB5_1406:                             ;   Parent Loop BB5_278 Depth=1
                                        ; =>  This Inner Loop Header: Depth=2
	s_sleep 1
	global_load_dwordx2 v[18:19], v3, s[34:35] offset:40
	global_load_dwordx2 v[22:23], v3, s[34:35]
	v_pk_mov_b32 v[20:21], v[6:7], v[6:7] op_sel:[0,1]
	s_waitcnt vmcnt(1)
	v_and_b32_e32 v2, v18, v20
	s_waitcnt vmcnt(0)
	v_mad_u64_u32 v[6:7], s[30:31], v2, 24, v[22:23]
	v_and_b32_e32 v5, v19, v21
	v_mov_b32_e32 v2, v7
	v_mad_u64_u32 v[18:19], s[30:31], v5, 24, v[2:3]
	v_mov_b32_e32 v7, v18
	global_load_dwordx2 v[18:19], v[6:7], off glc
	s_waitcnt vmcnt(0)
	global_atomic_cmpswap_x2 v[6:7], v3, v[18:21], s[34:35] offset:24 glc
	s_waitcnt vmcnt(0)
	buffer_invl2
	buffer_wbinvl1_vol
	v_cmp_eq_u64_e32 vcc, v[6:7], v[20:21]
	s_or_b64 s[28:29], vcc, s[28:29]
	s_andn2_b64 exec, exec, s[28:29]
	s_cbranch_execnz .LBB5_1406
; %bb.1407:                             ;   in Loop: Header=BB5_278 Depth=1
	s_or_b64 exec, exec, s[28:29]
.LBB5_1408:                             ;   in Loop: Header=BB5_278 Depth=1
	s_or_b64 exec, exec, s[24:25]
.LBB5_1409:                             ;   in Loop: Header=BB5_278 Depth=1
	s_or_b64 exec, exec, s[22:23]
	global_load_dwordx2 v[22:23], v3, s[34:35] offset:40
	global_load_dwordx4 v[18:21], v3, s[34:35]
	v_readfirstlane_b32 s22, v6
	v_readfirstlane_b32 s23, v7
	s_mov_b64 s[24:25], exec
	s_waitcnt vmcnt(1)
	v_readfirstlane_b32 s28, v22
	v_readfirstlane_b32 s29, v23
	s_and_b64 s[28:29], s[22:23], s[28:29]
	s_mul_i32 s30, s29, 24
	s_mul_hi_u32 s31, s28, 24
	s_mul_i32 s52, s28, 24
	s_add_i32 s30, s31, s30
	v_mov_b32_e32 v2, s30
	s_waitcnt vmcnt(0)
	v_add_co_u32_e32 v22, vcc, s52, v18
	v_addc_co_u32_e32 v23, vcc, v19, v2, vcc
	s_and_saveexec_b64 s[30:31], s[4:5]
	s_cbranch_execz .LBB5_1411
; %bb.1410:                             ;   in Loop: Header=BB5_278 Depth=1
	v_pk_mov_b32 v[6:7], s[24:25], s[24:25] op_sel:[0,1]
	global_store_dwordx4 v[22:23], v[6:9], off offset:8
.LBB5_1411:                             ;   in Loop: Header=BB5_278 Depth=1
	s_or_b64 exec, exec, s[30:31]
	s_lshl_b64 s[24:25], s[28:29], 12
	v_mov_b32_e32 v2, s25
	v_add_co_u32_e32 v6, vcc, s24, v20
	v_addc_co_u32_e32 v5, vcc, v21, v2, vcc
	v_pk_mov_b32 v[26:27], s[10:11], s[10:11] op_sel:[0,1]
	v_and_or_b32 v0, v0, s33, 32
	v_mov_b32_e32 v2, v3
	v_readfirstlane_b32 s24, v6
	v_readfirstlane_b32 s25, v5
	v_pk_mov_b32 v[24:25], s[8:9], s[8:9] op_sel:[0,1]
	s_nop 3
	global_store_dwordx4 v50, v[0:3], s[24:25]
	global_store_dwordx4 v50, v[24:27], s[24:25] offset:16
	global_store_dwordx4 v50, v[24:27], s[24:25] offset:32
	;; [unrolled: 1-line block ×3, first 2 shown]
	s_and_saveexec_b64 s[24:25], s[4:5]
	s_cbranch_execz .LBB5_1419
; %bb.1412:                             ;   in Loop: Header=BB5_278 Depth=1
	global_load_dwordx2 v[26:27], v3, s[34:35] offset:32 glc
	global_load_dwordx2 v[0:1], v3, s[34:35] offset:40
	v_mov_b32_e32 v24, s22
	v_mov_b32_e32 v25, s23
	s_waitcnt vmcnt(0)
	v_readfirstlane_b32 s28, v0
	v_readfirstlane_b32 s29, v1
	s_and_b64 s[28:29], s[28:29], s[22:23]
	s_mul_i32 s29, s29, 24
	s_mul_hi_u32 s30, s28, 24
	s_mul_i32 s28, s28, 24
	s_add_i32 s29, s30, s29
	v_mov_b32_e32 v1, s29
	v_add_co_u32_e32 v0, vcc, s28, v18
	v_addc_co_u32_e32 v1, vcc, v19, v1, vcc
	global_store_dwordx2 v[0:1], v[26:27], off
	buffer_wbl2
	s_waitcnt vmcnt(0)
	global_atomic_cmpswap_x2 v[20:21], v3, v[24:27], s[34:35] offset:32 glc
	s_waitcnt vmcnt(0)
	v_cmp_ne_u64_e32 vcc, v[20:21], v[26:27]
	s_and_saveexec_b64 s[28:29], vcc
	s_cbranch_execz .LBB5_1415
; %bb.1413:                             ;   in Loop: Header=BB5_278 Depth=1
	s_mov_b64 s[30:31], 0
.LBB5_1414:                             ;   Parent Loop BB5_278 Depth=1
                                        ; =>  This Inner Loop Header: Depth=2
	s_sleep 1
	global_store_dwordx2 v[0:1], v[20:21], off
	v_mov_b32_e32 v18, s22
	v_mov_b32_e32 v19, s23
	buffer_wbl2
	s_waitcnt vmcnt(0)
	global_atomic_cmpswap_x2 v[18:19], v3, v[18:21], s[34:35] offset:32 glc
	s_waitcnt vmcnt(0)
	v_cmp_eq_u64_e32 vcc, v[18:19], v[20:21]
	s_or_b64 s[30:31], vcc, s[30:31]
	v_pk_mov_b32 v[20:21], v[18:19], v[18:19] op_sel:[0,1]
	s_andn2_b64 exec, exec, s[30:31]
	s_cbranch_execnz .LBB5_1414
.LBB5_1415:                             ;   in Loop: Header=BB5_278 Depth=1
	s_or_b64 exec, exec, s[28:29]
	global_load_dwordx2 v[0:1], v3, s[34:35] offset:16
	s_mov_b64 s[30:31], exec
	v_mbcnt_lo_u32_b32 v2, s30, 0
	v_mbcnt_hi_u32_b32 v2, s31, v2
	v_cmp_eq_u32_e32 vcc, 0, v2
	s_and_saveexec_b64 s[28:29], vcc
	s_cbranch_execz .LBB5_1417
; %bb.1416:                             ;   in Loop: Header=BB5_278 Depth=1
	s_bcnt1_i32_b64 s30, s[30:31]
	v_mov_b32_e32 v2, s30
	buffer_wbl2
	s_waitcnt vmcnt(0)
	global_atomic_add_x2 v[0:1], v[2:3], off offset:8
.LBB5_1417:                             ;   in Loop: Header=BB5_278 Depth=1
	s_or_b64 exec, exec, s[28:29]
	s_waitcnt vmcnt(0)
	global_load_dwordx2 v[18:19], v[0:1], off offset:16
	s_waitcnt vmcnt(0)
	v_cmp_eq_u64_e32 vcc, 0, v[18:19]
	s_cbranch_vccnz .LBB5_1419
; %bb.1418:                             ;   in Loop: Header=BB5_278 Depth=1
	global_load_dword v2, v[0:1], off offset:24
	s_waitcnt vmcnt(0)
	v_and_b32_e32 v0, 0xffffff, v2
	v_readfirstlane_b32 m0, v0
	buffer_wbl2
	global_store_dwordx2 v[18:19], v[2:3], off
	s_sendmsg sendmsg(MSG_INTERRUPT)
.LBB5_1419:                             ;   in Loop: Header=BB5_278 Depth=1
	s_or_b64 exec, exec, s[24:25]
	v_add_co_u32_e32 v0, vcc, v6, v50
	v_addc_co_u32_e32 v1, vcc, 0, v5, vcc
	s_branch .LBB5_1423
.LBB5_1420:                             ;   in Loop: Header=BB5_1423 Depth=2
	s_or_b64 exec, exec, s[24:25]
	v_readfirstlane_b32 s24, v2
	s_cmp_eq_u32 s24, 0
	s_cbranch_scc1 .LBB5_1422
; %bb.1421:                             ;   in Loop: Header=BB5_1423 Depth=2
	s_sleep 1
	s_cbranch_execnz .LBB5_1423
	s_branch .LBB5_1425
.LBB5_1422:                             ;   in Loop: Header=BB5_278 Depth=1
	s_branch .LBB5_1425
.LBB5_1423:                             ;   Parent Loop BB5_278 Depth=1
                                        ; =>  This Inner Loop Header: Depth=2
	v_mov_b32_e32 v2, 1
	s_and_saveexec_b64 s[24:25], s[4:5]
	s_cbranch_execz .LBB5_1420
; %bb.1424:                             ;   in Loop: Header=BB5_1423 Depth=2
	global_load_dword v2, v[22:23], off offset:20 glc
	s_waitcnt vmcnt(0)
	buffer_invl2
	buffer_wbinvl1_vol
	v_and_b32_e32 v2, 1, v2
	s_branch .LBB5_1420
.LBB5_1425:                             ;   in Loop: Header=BB5_278 Depth=1
	global_load_dwordx2 v[18:19], v[0:1], off
	s_and_saveexec_b64 s[24:25], s[4:5]
	s_cbranch_execz .LBB5_1429
; %bb.1426:                             ;   in Loop: Header=BB5_278 Depth=1
	global_load_dwordx2 v[0:1], v3, s[34:35] offset:40
	global_load_dwordx2 v[6:7], v3, s[34:35] offset:24 glc
	global_load_dwordx2 v[24:25], v3, s[34:35]
	v_mov_b32_e32 v2, s23
	s_waitcnt vmcnt(2)
	v_add_co_u32_e32 v5, vcc, 1, v0
	v_addc_co_u32_e32 v23, vcc, 0, v1, vcc
	v_add_co_u32_e32 v20, vcc, s22, v5
	v_addc_co_u32_e32 v21, vcc, v23, v2, vcc
	v_cmp_eq_u64_e32 vcc, 0, v[20:21]
	v_cndmask_b32_e32 v21, v21, v23, vcc
	v_cndmask_b32_e32 v20, v20, v5, vcc
	v_and_b32_e32 v1, v21, v1
	v_and_b32_e32 v0, v20, v0
	v_mul_lo_u32 v1, v1, 24
	v_mul_hi_u32 v2, v0, 24
	v_mul_lo_u32 v0, v0, 24
	v_add_u32_e32 v1, v2, v1
	s_waitcnt vmcnt(0)
	v_add_co_u32_e32 v0, vcc, v24, v0
	v_addc_co_u32_e32 v1, vcc, v25, v1, vcc
	v_mov_b32_e32 v22, v6
	global_store_dwordx2 v[0:1], v[6:7], off
	v_mov_b32_e32 v23, v7
	buffer_wbl2
	s_waitcnt vmcnt(0)
	global_atomic_cmpswap_x2 v[22:23], v3, v[20:23], s[34:35] offset:24 glc
	s_waitcnt vmcnt(0)
	v_cmp_ne_u64_e32 vcc, v[22:23], v[6:7]
	s_and_b64 exec, exec, vcc
	s_cbranch_execz .LBB5_1429
; %bb.1427:                             ;   in Loop: Header=BB5_278 Depth=1
	s_mov_b64 s[4:5], 0
.LBB5_1428:                             ;   Parent Loop BB5_278 Depth=1
                                        ; =>  This Inner Loop Header: Depth=2
	s_sleep 1
	global_store_dwordx2 v[0:1], v[22:23], off
	buffer_wbl2
	s_waitcnt vmcnt(0)
	global_atomic_cmpswap_x2 v[6:7], v3, v[20:23], s[34:35] offset:24 glc
	s_waitcnt vmcnt(0)
	v_cmp_eq_u64_e32 vcc, v[6:7], v[22:23]
	s_or_b64 s[4:5], vcc, s[4:5]
	v_pk_mov_b32 v[22:23], v[6:7], v[6:7] op_sel:[0,1]
	s_andn2_b64 exec, exec, s[4:5]
	s_cbranch_execnz .LBB5_1428
.LBB5_1429:                             ;   in Loop: Header=BB5_278 Depth=1
	s_or_b64 exec, exec, s[24:25]
.LBB5_1430:                             ;   in Loop: Header=BB5_278 Depth=1
	v_readfirstlane_b32 s4, v51
	v_cmp_eq_u32_e64 s[4:5], s4, v51
	s_waitcnt vmcnt(0)
	v_pk_mov_b32 v[0:1], 0, 0
	s_and_saveexec_b64 s[22:23], s[4:5]
	s_cbranch_execz .LBB5_1436
; %bb.1431:                             ;   in Loop: Header=BB5_278 Depth=1
	global_load_dwordx2 v[22:23], v3, s[34:35] offset:24 glc
	s_waitcnt vmcnt(0)
	buffer_invl2
	buffer_wbinvl1_vol
	global_load_dwordx2 v[0:1], v3, s[34:35] offset:40
	global_load_dwordx2 v[6:7], v3, s[34:35]
	s_waitcnt vmcnt(1)
	v_and_b32_e32 v0, v0, v22
	v_and_b32_e32 v1, v1, v23
	v_mul_lo_u32 v1, v1, 24
	v_mul_hi_u32 v2, v0, 24
	v_mul_lo_u32 v0, v0, 24
	v_add_u32_e32 v1, v2, v1
	s_waitcnt vmcnt(0)
	v_add_co_u32_e32 v0, vcc, v6, v0
	v_addc_co_u32_e32 v1, vcc, v7, v1, vcc
	global_load_dwordx2 v[20:21], v[0:1], off glc
	s_waitcnt vmcnt(0)
	global_atomic_cmpswap_x2 v[0:1], v3, v[20:23], s[34:35] offset:24 glc
	s_waitcnt vmcnt(0)
	buffer_invl2
	buffer_wbinvl1_vol
	v_cmp_ne_u64_e32 vcc, v[0:1], v[22:23]
	s_and_saveexec_b64 s[24:25], vcc
	s_cbranch_execz .LBB5_1435
; %bb.1432:                             ;   in Loop: Header=BB5_278 Depth=1
	s_mov_b64 s[28:29], 0
.LBB5_1433:                             ;   Parent Loop BB5_278 Depth=1
                                        ; =>  This Inner Loop Header: Depth=2
	s_sleep 1
	global_load_dwordx2 v[6:7], v3, s[34:35] offset:40
	global_load_dwordx2 v[20:21], v3, s[34:35]
	v_pk_mov_b32 v[22:23], v[0:1], v[0:1] op_sel:[0,1]
	s_waitcnt vmcnt(1)
	v_and_b32_e32 v0, v6, v22
	s_waitcnt vmcnt(0)
	v_mad_u64_u32 v[0:1], s[30:31], v0, 24, v[20:21]
	v_and_b32_e32 v5, v7, v23
	v_mov_b32_e32 v2, v1
	v_mad_u64_u32 v[6:7], s[30:31], v5, 24, v[2:3]
	v_mov_b32_e32 v1, v6
	global_load_dwordx2 v[20:21], v[0:1], off glc
	s_waitcnt vmcnt(0)
	global_atomic_cmpswap_x2 v[0:1], v3, v[20:23], s[34:35] offset:24 glc
	s_waitcnt vmcnt(0)
	buffer_invl2
	buffer_wbinvl1_vol
	v_cmp_eq_u64_e32 vcc, v[0:1], v[22:23]
	s_or_b64 s[28:29], vcc, s[28:29]
	s_andn2_b64 exec, exec, s[28:29]
	s_cbranch_execnz .LBB5_1433
; %bb.1434:                             ;   in Loop: Header=BB5_278 Depth=1
	s_or_b64 exec, exec, s[28:29]
.LBB5_1435:                             ;   in Loop: Header=BB5_278 Depth=1
	s_or_b64 exec, exec, s[24:25]
.LBB5_1436:                             ;   in Loop: Header=BB5_278 Depth=1
	s_or_b64 exec, exec, s[22:23]
	global_load_dwordx2 v[6:7], v3, s[34:35] offset:40
	global_load_dwordx4 v[22:25], v3, s[34:35]
	v_readfirstlane_b32 s22, v0
	v_readfirstlane_b32 s23, v1
	s_mov_b64 s[24:25], exec
	s_waitcnt vmcnt(1)
	v_readfirstlane_b32 s28, v6
	v_readfirstlane_b32 s29, v7
	s_and_b64 s[28:29], s[22:23], s[28:29]
	s_mul_i32 s30, s29, 24
	s_mul_hi_u32 s31, s28, 24
	s_mul_i32 s52, s28, 24
	s_add_i32 s30, s31, s30
	v_mov_b32_e32 v1, s30
	s_waitcnt vmcnt(0)
	v_add_co_u32_e32 v0, vcc, s52, v22
	v_addc_co_u32_e32 v1, vcc, v23, v1, vcc
	s_and_saveexec_b64 s[30:31], s[4:5]
	s_cbranch_execz .LBB5_1438
; %bb.1437:                             ;   in Loop: Header=BB5_278 Depth=1
	v_pk_mov_b32 v[6:7], s[24:25], s[24:25] op_sel:[0,1]
	global_store_dwordx4 v[0:1], v[6:9], off offset:8
.LBB5_1438:                             ;   in Loop: Header=BB5_278 Depth=1
	s_or_b64 exec, exec, s[30:31]
	s_lshl_b64 s[24:25], s[28:29], 12
	v_mov_b32_e32 v5, s25
	v_add_co_u32_e32 v2, vcc, s24, v24
	v_addc_co_u32_e32 v5, vcc, v25, v5, vcc
	v_and_or_b32 v18, v18, s60, 34
	v_mov_b32_e32 v20, v39
	v_mov_b32_e32 v21, v3
	v_readfirstlane_b32 s24, v2
	v_readfirstlane_b32 s25, v5
	s_nop 4
	global_store_dwordx4 v50, v[18:21], s[24:25]
	s_nop 0
	v_pk_mov_b32 v[20:21], s[10:11], s[10:11] op_sel:[0,1]
	v_pk_mov_b32 v[18:19], s[8:9], s[8:9] op_sel:[0,1]
	global_store_dwordx4 v50, v[18:21], s[24:25] offset:16
	global_store_dwordx4 v50, v[18:21], s[24:25] offset:32
	;; [unrolled: 1-line block ×3, first 2 shown]
	s_and_saveexec_b64 s[24:25], s[4:5]
	s_cbranch_execz .LBB5_1446
; %bb.1439:                             ;   in Loop: Header=BB5_278 Depth=1
	global_load_dwordx2 v[26:27], v3, s[34:35] offset:32 glc
	global_load_dwordx2 v[6:7], v3, s[34:35] offset:40
	v_mov_b32_e32 v24, s22
	v_mov_b32_e32 v25, s23
	s_waitcnt vmcnt(0)
	v_readfirstlane_b32 s28, v6
	v_readfirstlane_b32 s29, v7
	s_and_b64 s[28:29], s[28:29], s[22:23]
	s_mul_i32 s29, s29, 24
	s_mul_hi_u32 s30, s28, 24
	s_mul_i32 s28, s28, 24
	s_add_i32 s29, s30, s29
	v_mov_b32_e32 v2, s29
	v_add_co_u32_e32 v6, vcc, s28, v22
	v_addc_co_u32_e32 v7, vcc, v23, v2, vcc
	global_store_dwordx2 v[6:7], v[26:27], off
	buffer_wbl2
	s_waitcnt vmcnt(0)
	global_atomic_cmpswap_x2 v[20:21], v3, v[24:27], s[34:35] offset:32 glc
	s_waitcnt vmcnt(0)
	v_cmp_ne_u64_e32 vcc, v[20:21], v[26:27]
	s_and_saveexec_b64 s[28:29], vcc
	s_cbranch_execz .LBB5_1442
; %bb.1440:                             ;   in Loop: Header=BB5_278 Depth=1
	s_mov_b64 s[30:31], 0
.LBB5_1441:                             ;   Parent Loop BB5_278 Depth=1
                                        ; =>  This Inner Loop Header: Depth=2
	s_sleep 1
	global_store_dwordx2 v[6:7], v[20:21], off
	v_mov_b32_e32 v18, s22
	v_mov_b32_e32 v19, s23
	buffer_wbl2
	s_waitcnt vmcnt(0)
	global_atomic_cmpswap_x2 v[18:19], v3, v[18:21], s[34:35] offset:32 glc
	s_waitcnt vmcnt(0)
	v_cmp_eq_u64_e32 vcc, v[18:19], v[20:21]
	s_or_b64 s[30:31], vcc, s[30:31]
	v_pk_mov_b32 v[20:21], v[18:19], v[18:19] op_sel:[0,1]
	s_andn2_b64 exec, exec, s[30:31]
	s_cbranch_execnz .LBB5_1441
.LBB5_1442:                             ;   in Loop: Header=BB5_278 Depth=1
	s_or_b64 exec, exec, s[28:29]
	global_load_dwordx2 v[6:7], v3, s[34:35] offset:16
	s_mov_b64 s[30:31], exec
	v_mbcnt_lo_u32_b32 v2, s30, 0
	v_mbcnt_hi_u32_b32 v2, s31, v2
	v_cmp_eq_u32_e32 vcc, 0, v2
	s_and_saveexec_b64 s[28:29], vcc
	s_cbranch_execz .LBB5_1444
; %bb.1443:                             ;   in Loop: Header=BB5_278 Depth=1
	s_bcnt1_i32_b64 s30, s[30:31]
	v_mov_b32_e32 v2, s30
	buffer_wbl2
	s_waitcnt vmcnt(0)
	global_atomic_add_x2 v[6:7], v[2:3], off offset:8
.LBB5_1444:                             ;   in Loop: Header=BB5_278 Depth=1
	s_or_b64 exec, exec, s[28:29]
	s_waitcnt vmcnt(0)
	global_load_dwordx2 v[18:19], v[6:7], off offset:16
	s_waitcnt vmcnt(0)
	v_cmp_eq_u64_e32 vcc, 0, v[18:19]
	s_cbranch_vccnz .LBB5_1446
; %bb.1445:                             ;   in Loop: Header=BB5_278 Depth=1
	global_load_dword v2, v[6:7], off offset:24
	buffer_wbl2
	s_waitcnt vmcnt(0)
	global_store_dwordx2 v[18:19], v[2:3], off
	v_and_b32_e32 v2, 0xffffff, v2
	v_readfirstlane_b32 m0, v2
	s_sendmsg sendmsg(MSG_INTERRUPT)
.LBB5_1446:                             ;   in Loop: Header=BB5_278 Depth=1
	s_or_b64 exec, exec, s[24:25]
	s_branch .LBB5_1450
.LBB5_1447:                             ;   in Loop: Header=BB5_1450 Depth=2
	s_or_b64 exec, exec, s[24:25]
	v_readfirstlane_b32 s24, v2
	s_cmp_eq_u32 s24, 0
	s_cbranch_scc1 .LBB5_1449
; %bb.1448:                             ;   in Loop: Header=BB5_1450 Depth=2
	s_sleep 1
	s_cbranch_execnz .LBB5_1450
	s_branch .LBB5_1452
.LBB5_1449:                             ;   in Loop: Header=BB5_278 Depth=1
	s_branch .LBB5_1452
.LBB5_1450:                             ;   Parent Loop BB5_278 Depth=1
                                        ; =>  This Inner Loop Header: Depth=2
	v_mov_b32_e32 v2, 1
	s_and_saveexec_b64 s[24:25], s[4:5]
	s_cbranch_execz .LBB5_1447
; %bb.1451:                             ;   in Loop: Header=BB5_1450 Depth=2
	global_load_dword v2, v[0:1], off offset:20 glc
	s_waitcnt vmcnt(0)
	buffer_invl2
	buffer_wbinvl1_vol
	v_and_b32_e32 v2, 1, v2
	s_branch .LBB5_1447
.LBB5_1452:                             ;   in Loop: Header=BB5_278 Depth=1
	s_and_saveexec_b64 s[24:25], s[4:5]
	s_cbranch_execz .LBB5_1456
; %bb.1453:                             ;   in Loop: Header=BB5_278 Depth=1
	global_load_dwordx2 v[0:1], v3, s[34:35] offset:40
	global_load_dwordx2 v[6:7], v3, s[34:35] offset:24 glc
	global_load_dwordx2 v[22:23], v3, s[34:35]
	v_mov_b32_e32 v2, s23
	s_waitcnt vmcnt(2)
	v_add_co_u32_e32 v5, vcc, 1, v0
	v_addc_co_u32_e32 v21, vcc, 0, v1, vcc
	v_add_co_u32_e32 v18, vcc, s22, v5
	v_addc_co_u32_e32 v19, vcc, v21, v2, vcc
	v_cmp_eq_u64_e32 vcc, 0, v[18:19]
	v_cndmask_b32_e32 v19, v19, v21, vcc
	v_cndmask_b32_e32 v18, v18, v5, vcc
	v_and_b32_e32 v1, v19, v1
	v_and_b32_e32 v0, v18, v0
	v_mul_lo_u32 v1, v1, 24
	v_mul_hi_u32 v2, v0, 24
	v_mul_lo_u32 v0, v0, 24
	v_add_u32_e32 v1, v2, v1
	s_waitcnt vmcnt(0)
	v_add_co_u32_e32 v0, vcc, v22, v0
	v_addc_co_u32_e32 v1, vcc, v23, v1, vcc
	v_mov_b32_e32 v20, v6
	global_store_dwordx2 v[0:1], v[6:7], off
	v_mov_b32_e32 v21, v7
	buffer_wbl2
	s_waitcnt vmcnt(0)
	global_atomic_cmpswap_x2 v[20:21], v3, v[18:21], s[34:35] offset:24 glc
	s_waitcnt vmcnt(0)
	v_cmp_ne_u64_e32 vcc, v[20:21], v[6:7]
	s_and_b64 exec, exec, vcc
	s_cbranch_execz .LBB5_1456
; %bb.1454:                             ;   in Loop: Header=BB5_278 Depth=1
	s_mov_b64 s[4:5], 0
.LBB5_1455:                             ;   Parent Loop BB5_278 Depth=1
                                        ; =>  This Inner Loop Header: Depth=2
	s_sleep 1
	global_store_dwordx2 v[0:1], v[20:21], off
	buffer_wbl2
	s_waitcnt vmcnt(0)
	global_atomic_cmpswap_x2 v[6:7], v3, v[18:21], s[34:35] offset:24 glc
	s_waitcnt vmcnt(0)
	v_cmp_eq_u64_e32 vcc, v[6:7], v[20:21]
	s_or_b64 s[4:5], vcc, s[4:5]
	v_pk_mov_b32 v[20:21], v[6:7], v[6:7] op_sel:[0,1]
	s_andn2_b64 exec, exec, s[4:5]
	s_cbranch_execnz .LBB5_1455
.LBB5_1456:                             ;   in Loop: Header=BB5_278 Depth=1
	s_or_b64 exec, exec, s[24:25]
	v_readfirstlane_b32 s4, v51
	v_cmp_eq_u32_e64 s[4:5], s4, v51
	v_pk_mov_b32 v[0:1], 0, 0
	s_and_saveexec_b64 s[22:23], s[4:5]
	s_cbranch_execz .LBB5_1462
; %bb.1457:                             ;   in Loop: Header=BB5_278 Depth=1
	global_load_dwordx2 v[20:21], v3, s[34:35] offset:24 glc
	s_waitcnt vmcnt(0)
	buffer_invl2
	buffer_wbinvl1_vol
	global_load_dwordx2 v[0:1], v3, s[34:35] offset:40
	global_load_dwordx2 v[6:7], v3, s[34:35]
	s_waitcnt vmcnt(1)
	v_and_b32_e32 v0, v0, v20
	v_and_b32_e32 v1, v1, v21
	v_mul_lo_u32 v1, v1, 24
	v_mul_hi_u32 v2, v0, 24
	v_mul_lo_u32 v0, v0, 24
	v_add_u32_e32 v1, v2, v1
	s_waitcnt vmcnt(0)
	v_add_co_u32_e32 v0, vcc, v6, v0
	v_addc_co_u32_e32 v1, vcc, v7, v1, vcc
	global_load_dwordx2 v[18:19], v[0:1], off glc
	s_waitcnt vmcnt(0)
	global_atomic_cmpswap_x2 v[0:1], v3, v[18:21], s[34:35] offset:24 glc
	s_waitcnt vmcnt(0)
	buffer_invl2
	buffer_wbinvl1_vol
	v_cmp_ne_u64_e32 vcc, v[0:1], v[20:21]
	s_and_saveexec_b64 s[24:25], vcc
	s_cbranch_execz .LBB5_1461
; %bb.1458:                             ;   in Loop: Header=BB5_278 Depth=1
	s_mov_b64 s[28:29], 0
.LBB5_1459:                             ;   Parent Loop BB5_278 Depth=1
                                        ; =>  This Inner Loop Header: Depth=2
	s_sleep 1
	global_load_dwordx2 v[6:7], v3, s[34:35] offset:40
	global_load_dwordx2 v[18:19], v3, s[34:35]
	v_pk_mov_b32 v[20:21], v[0:1], v[0:1] op_sel:[0,1]
	s_waitcnt vmcnt(1)
	v_and_b32_e32 v0, v6, v20
	s_waitcnt vmcnt(0)
	v_mad_u64_u32 v[0:1], s[30:31], v0, 24, v[18:19]
	v_and_b32_e32 v5, v7, v21
	v_mov_b32_e32 v2, v1
	v_mad_u64_u32 v[6:7], s[30:31], v5, 24, v[2:3]
	v_mov_b32_e32 v1, v6
	global_load_dwordx2 v[18:19], v[0:1], off glc
	s_waitcnt vmcnt(0)
	global_atomic_cmpswap_x2 v[0:1], v3, v[18:21], s[34:35] offset:24 glc
	s_waitcnt vmcnt(0)
	buffer_invl2
	buffer_wbinvl1_vol
	v_cmp_eq_u64_e32 vcc, v[0:1], v[20:21]
	s_or_b64 s[28:29], vcc, s[28:29]
	s_andn2_b64 exec, exec, s[28:29]
	s_cbranch_execnz .LBB5_1459
; %bb.1460:                             ;   in Loop: Header=BB5_278 Depth=1
	s_or_b64 exec, exec, s[28:29]
.LBB5_1461:                             ;   in Loop: Header=BB5_278 Depth=1
	s_or_b64 exec, exec, s[24:25]
.LBB5_1462:                             ;   in Loop: Header=BB5_278 Depth=1
	s_or_b64 exec, exec, s[22:23]
	global_load_dwordx2 v[6:7], v3, s[34:35] offset:40
	global_load_dwordx4 v[18:21], v3, s[34:35]
	v_readfirstlane_b32 s22, v0
	v_readfirstlane_b32 s23, v1
	s_mov_b64 s[24:25], exec
	s_waitcnt vmcnt(1)
	v_readfirstlane_b32 s28, v6
	v_readfirstlane_b32 s29, v7
	s_and_b64 s[28:29], s[22:23], s[28:29]
	s_mul_i32 s30, s29, 24
	s_mul_hi_u32 s31, s28, 24
	s_mul_i32 s52, s28, 24
	s_add_i32 s30, s31, s30
	v_mov_b32_e32 v1, s30
	s_waitcnt vmcnt(0)
	v_add_co_u32_e32 v0, vcc, s52, v18
	v_addc_co_u32_e32 v1, vcc, v19, v1, vcc
	s_and_saveexec_b64 s[30:31], s[4:5]
	s_cbranch_execz .LBB5_1464
; %bb.1463:                             ;   in Loop: Header=BB5_278 Depth=1
	v_pk_mov_b32 v[6:7], s[24:25], s[24:25] op_sel:[0,1]
	global_store_dwordx4 v[0:1], v[6:9], off offset:8
.LBB5_1464:                             ;   in Loop: Header=BB5_278 Depth=1
	s_or_b64 exec, exec, s[30:31]
	s_lshl_b64 s[24:25], s[28:29], 12
	v_mov_b32_e32 v2, s25
	v_add_co_u32_e32 v22, vcc, s24, v20
	v_addc_co_u32_e32 v23, vcc, v21, v2, vcc
	v_pk_mov_b32 v[26:27], s[10:11], s[10:11] op_sel:[0,1]
	v_mov_b32_e32 v5, v3
	v_mov_b32_e32 v6, v3
	;; [unrolled: 1-line block ×3, first 2 shown]
	v_readfirstlane_b32 s24, v22
	v_readfirstlane_b32 s25, v23
	v_pk_mov_b32 v[24:25], s[8:9], s[8:9] op_sel:[0,1]
	s_nop 3
	global_store_dwordx4 v50, v[4:7], s[24:25]
	global_store_dwordx4 v50, v[24:27], s[24:25] offset:16
	global_store_dwordx4 v50, v[24:27], s[24:25] offset:32
	;; [unrolled: 1-line block ×3, first 2 shown]
	s_and_saveexec_b64 s[24:25], s[4:5]
	s_cbranch_execz .LBB5_1472
; %bb.1465:                             ;   in Loop: Header=BB5_278 Depth=1
	global_load_dwordx2 v[26:27], v3, s[34:35] offset:32 glc
	global_load_dwordx2 v[6:7], v3, s[34:35] offset:40
	v_mov_b32_e32 v24, s22
	v_mov_b32_e32 v25, s23
	s_waitcnt vmcnt(0)
	v_readfirstlane_b32 s28, v6
	v_readfirstlane_b32 s29, v7
	s_and_b64 s[28:29], s[28:29], s[22:23]
	s_mul_i32 s29, s29, 24
	s_mul_hi_u32 s30, s28, 24
	s_mul_i32 s28, s28, 24
	s_add_i32 s29, s30, s29
	v_mov_b32_e32 v2, s29
	v_add_co_u32_e32 v6, vcc, s28, v18
	v_addc_co_u32_e32 v7, vcc, v19, v2, vcc
	global_store_dwordx2 v[6:7], v[26:27], off
	buffer_wbl2
	s_waitcnt vmcnt(0)
	global_atomic_cmpswap_x2 v[20:21], v3, v[24:27], s[34:35] offset:32 glc
	s_waitcnt vmcnt(0)
	v_cmp_ne_u64_e32 vcc, v[20:21], v[26:27]
	s_and_saveexec_b64 s[28:29], vcc
	s_cbranch_execz .LBB5_1468
; %bb.1466:                             ;   in Loop: Header=BB5_278 Depth=1
	s_mov_b64 s[30:31], 0
.LBB5_1467:                             ;   Parent Loop BB5_278 Depth=1
                                        ; =>  This Inner Loop Header: Depth=2
	s_sleep 1
	global_store_dwordx2 v[6:7], v[20:21], off
	v_mov_b32_e32 v18, s22
	v_mov_b32_e32 v19, s23
	buffer_wbl2
	s_waitcnt vmcnt(0)
	global_atomic_cmpswap_x2 v[18:19], v3, v[18:21], s[34:35] offset:32 glc
	s_waitcnt vmcnt(0)
	v_cmp_eq_u64_e32 vcc, v[18:19], v[20:21]
	s_or_b64 s[30:31], vcc, s[30:31]
	v_pk_mov_b32 v[20:21], v[18:19], v[18:19] op_sel:[0,1]
	s_andn2_b64 exec, exec, s[30:31]
	s_cbranch_execnz .LBB5_1467
.LBB5_1468:                             ;   in Loop: Header=BB5_278 Depth=1
	s_or_b64 exec, exec, s[28:29]
	global_load_dwordx2 v[6:7], v3, s[34:35] offset:16
	s_mov_b64 s[30:31], exec
	v_mbcnt_lo_u32_b32 v2, s30, 0
	v_mbcnt_hi_u32_b32 v2, s31, v2
	v_cmp_eq_u32_e32 vcc, 0, v2
	s_and_saveexec_b64 s[28:29], vcc
	s_cbranch_execz .LBB5_1470
; %bb.1469:                             ;   in Loop: Header=BB5_278 Depth=1
	s_bcnt1_i32_b64 s30, s[30:31]
	v_mov_b32_e32 v2, s30
	buffer_wbl2
	s_waitcnt vmcnt(0)
	global_atomic_add_x2 v[6:7], v[2:3], off offset:8
.LBB5_1470:                             ;   in Loop: Header=BB5_278 Depth=1
	s_or_b64 exec, exec, s[28:29]
	s_waitcnt vmcnt(0)
	global_load_dwordx2 v[18:19], v[6:7], off offset:16
	s_waitcnt vmcnt(0)
	v_cmp_eq_u64_e32 vcc, 0, v[18:19]
	s_cbranch_vccnz .LBB5_1472
; %bb.1471:                             ;   in Loop: Header=BB5_278 Depth=1
	global_load_dword v2, v[6:7], off offset:24
	buffer_wbl2
	s_waitcnt vmcnt(0)
	global_store_dwordx2 v[18:19], v[2:3], off
	v_and_b32_e32 v2, 0xffffff, v2
	v_readfirstlane_b32 m0, v2
	s_sendmsg sendmsg(MSG_INTERRUPT)
.LBB5_1472:                             ;   in Loop: Header=BB5_278 Depth=1
	s_or_b64 exec, exec, s[24:25]
	v_add_co_u32_e32 v6, vcc, v22, v50
	v_addc_co_u32_e32 v7, vcc, 0, v23, vcc
	s_branch .LBB5_1476
.LBB5_1473:                             ;   in Loop: Header=BB5_1476 Depth=2
	s_or_b64 exec, exec, s[24:25]
	v_readfirstlane_b32 s24, v2
	s_cmp_eq_u32 s24, 0
	s_cbranch_scc1 .LBB5_1475
; %bb.1474:                             ;   in Loop: Header=BB5_1476 Depth=2
	s_sleep 1
	s_cbranch_execnz .LBB5_1476
	s_branch .LBB5_1478
.LBB5_1475:                             ;   in Loop: Header=BB5_278 Depth=1
	s_branch .LBB5_1478
.LBB5_1476:                             ;   Parent Loop BB5_278 Depth=1
                                        ; =>  This Inner Loop Header: Depth=2
	v_mov_b32_e32 v2, 1
	s_and_saveexec_b64 s[24:25], s[4:5]
	s_cbranch_execz .LBB5_1473
; %bb.1477:                             ;   in Loop: Header=BB5_1476 Depth=2
	global_load_dword v2, v[0:1], off offset:20 glc
	s_waitcnt vmcnt(0)
	buffer_invl2
	buffer_wbinvl1_vol
	v_and_b32_e32 v2, 1, v2
	s_branch .LBB5_1473
.LBB5_1478:                             ;   in Loop: Header=BB5_278 Depth=1
	global_load_dwordx2 v[0:1], v[6:7], off
	s_and_saveexec_b64 s[24:25], s[4:5]
	s_cbranch_execz .LBB5_1482
; %bb.1479:                             ;   in Loop: Header=BB5_278 Depth=1
	global_load_dwordx2 v[6:7], v3, s[34:35] offset:40
	global_load_dwordx2 v[22:23], v3, s[34:35] offset:24 glc
	global_load_dwordx2 v[24:25], v3, s[34:35]
	v_mov_b32_e32 v2, s23
	s_waitcnt vmcnt(2)
	v_add_co_u32_e32 v5, vcc, 1, v6
	v_addc_co_u32_e32 v21, vcc, 0, v7, vcc
	v_add_co_u32_e32 v18, vcc, s22, v5
	v_addc_co_u32_e32 v19, vcc, v21, v2, vcc
	v_cmp_eq_u64_e32 vcc, 0, v[18:19]
	v_cndmask_b32_e32 v19, v19, v21, vcc
	v_cndmask_b32_e32 v18, v18, v5, vcc
	v_and_b32_e32 v2, v19, v7
	v_and_b32_e32 v5, v18, v6
	v_mul_lo_u32 v2, v2, 24
	v_mul_hi_u32 v6, v5, 24
	v_mul_lo_u32 v5, v5, 24
	v_add_u32_e32 v2, v6, v2
	s_waitcnt vmcnt(0)
	v_add_co_u32_e32 v6, vcc, v24, v5
	v_addc_co_u32_e32 v7, vcc, v25, v2, vcc
	v_mov_b32_e32 v20, v22
	global_store_dwordx2 v[6:7], v[22:23], off
	v_mov_b32_e32 v21, v23
	buffer_wbl2
	s_waitcnt vmcnt(0)
	global_atomic_cmpswap_x2 v[20:21], v3, v[18:21], s[34:35] offset:24 glc
	s_waitcnt vmcnt(0)
	v_cmp_ne_u64_e32 vcc, v[20:21], v[22:23]
	s_and_b64 exec, exec, vcc
	s_cbranch_execz .LBB5_1482
; %bb.1480:                             ;   in Loop: Header=BB5_278 Depth=1
	s_mov_b64 s[4:5], 0
.LBB5_1481:                             ;   Parent Loop BB5_278 Depth=1
                                        ; =>  This Inner Loop Header: Depth=2
	s_sleep 1
	global_store_dwordx2 v[6:7], v[20:21], off
	buffer_wbl2
	s_waitcnt vmcnt(0)
	global_atomic_cmpswap_x2 v[22:23], v3, v[18:21], s[34:35] offset:24 glc
	s_waitcnt vmcnt(0)
	v_cmp_eq_u64_e32 vcc, v[22:23], v[20:21]
	s_or_b64 s[4:5], vcc, s[4:5]
	v_pk_mov_b32 v[20:21], v[22:23], v[22:23] op_sel:[0,1]
	s_andn2_b64 exec, exec, s[4:5]
	s_cbranch_execnz .LBB5_1481
.LBB5_1482:                             ;   in Loop: Header=BB5_278 Depth=1
	s_or_b64 exec, exec, s[24:25]
	s_and_b64 vcc, exec, s[20:21]
	s_cbranch_vccz .LBB5_1567
; %bb.1483:                             ;   in Loop: Header=BB5_278 Depth=1
	s_waitcnt vmcnt(0)
	v_and_b32_e32 v18, -3, v0
	v_mov_b32_e32 v19, v1
	s_mov_b64 s[24:25], 2
	s_getpc_b64 s[22:23]
	s_add_u32 s22, s22, .str.8@rel32@lo+4
	s_addc_u32 s23, s23, .str.8@rel32@hi+12
	s_branch .LBB5_1485
.LBB5_1484:                             ;   in Loop: Header=BB5_1485 Depth=2
	s_or_b64 exec, exec, s[52:53]
	s_sub_u32 s24, s24, s28
	s_subb_u32 s25, s25, s29
	s_add_u32 s22, s22, s28
	s_addc_u32 s23, s23, s29
	s_cmp_lg_u64 s[24:25], 0
	s_cbranch_scc0 .LBB5_1566
.LBB5_1485:                             ;   Parent Loop BB5_278 Depth=1
                                        ; =>  This Loop Header: Depth=2
                                        ;       Child Loop BB5_1488 Depth 3
                                        ;       Child Loop BB5_1495 Depth 3
	;; [unrolled: 1-line block ×11, first 2 shown]
	v_cmp_lt_u64_e64 s[4:5], s[24:25], 56
	s_and_b64 s[4:5], s[4:5], exec
	v_cmp_gt_u64_e64 s[4:5], s[24:25], 7
	s_cselect_b32 s29, s25, 0
	s_cselect_b32 s28, s24, 56
	s_and_b64 vcc, exec, s[4:5]
	s_cbranch_vccnz .LBB5_1490
; %bb.1486:                             ;   in Loop: Header=BB5_1485 Depth=2
	s_mov_b64 s[4:5], 0
	s_cmp_eq_u64 s[24:25], 0
	s_waitcnt vmcnt(0)
	v_pk_mov_b32 v[20:21], 0, 0
	s_cbranch_scc1 .LBB5_1489
; %bb.1487:                             ;   in Loop: Header=BB5_1485 Depth=2
	s_lshl_b64 s[30:31], s[28:29], 3
	s_mov_b64 s[52:53], 0
	v_pk_mov_b32 v[20:21], 0, 0
	s_mov_b64 s[54:55], s[22:23]
.LBB5_1488:                             ;   Parent Loop BB5_278 Depth=1
                                        ;     Parent Loop BB5_1485 Depth=2
                                        ; =>    This Inner Loop Header: Depth=3
	global_load_ubyte v2, v3, s[54:55]
	s_waitcnt vmcnt(0)
	v_and_b32_e32 v2, 0xffff, v2
	v_lshlrev_b64 v[6:7], s52, v[2:3]
	s_add_u32 s52, s52, 8
	s_addc_u32 s53, s53, 0
	s_add_u32 s54, s54, 1
	s_addc_u32 s55, s55, 0
	v_or_b32_e32 v20, v6, v20
	s_cmp_lg_u32 s30, s52
	v_or_b32_e32 v21, v7, v21
	s_cbranch_scc1 .LBB5_1488
.LBB5_1489:                             ;   in Loop: Header=BB5_1485 Depth=2
	s_mov_b32 s54, 0
	s_andn2_b64 vcc, exec, s[4:5]
	s_mov_b64 s[4:5], s[22:23]
	s_cbranch_vccz .LBB5_1491
	s_branch .LBB5_1492
.LBB5_1490:                             ;   in Loop: Header=BB5_1485 Depth=2
                                        ; implicit-def: $sgpr54
	s_mov_b64 s[4:5], s[22:23]
.LBB5_1491:                             ;   in Loop: Header=BB5_1485 Depth=2
	global_load_dwordx2 v[20:21], v3, s[22:23]
	s_add_i32 s54, s28, -8
	s_add_u32 s4, s22, 8
	s_addc_u32 s5, s23, 0
.LBB5_1492:                             ;   in Loop: Header=BB5_1485 Depth=2
	s_cmp_gt_u32 s54, 7
	s_cbranch_scc1 .LBB5_1496
; %bb.1493:                             ;   in Loop: Header=BB5_1485 Depth=2
	s_cmp_eq_u32 s54, 0
	s_cbranch_scc1 .LBB5_1497
; %bb.1494:                             ;   in Loop: Header=BB5_1485 Depth=2
	s_mov_b64 s[30:31], 0
	v_pk_mov_b32 v[22:23], 0, 0
	s_mov_b64 s[52:53], 0
.LBB5_1495:                             ;   Parent Loop BB5_278 Depth=1
                                        ;     Parent Loop BB5_1485 Depth=2
                                        ; =>    This Inner Loop Header: Depth=3
	s_add_u32 s56, s4, s52
	s_addc_u32 s57, s5, s53
	global_load_ubyte v2, v3, s[56:57]
	s_add_u32 s52, s52, 1
	s_addc_u32 s53, s53, 0
	s_waitcnt vmcnt(0)
	v_and_b32_e32 v2, 0xffff, v2
	v_lshlrev_b64 v[6:7], s30, v[2:3]
	s_add_u32 s30, s30, 8
	s_addc_u32 s31, s31, 0
	v_or_b32_e32 v22, v6, v22
	s_cmp_lg_u32 s54, s52
	v_or_b32_e32 v23, v7, v23
	s_cbranch_scc1 .LBB5_1495
	s_branch .LBB5_1498
.LBB5_1496:                             ;   in Loop: Header=BB5_1485 Depth=2
                                        ; implicit-def: $vgpr22_vgpr23
                                        ; implicit-def: $sgpr55
	s_branch .LBB5_1499
.LBB5_1497:                             ;   in Loop: Header=BB5_1485 Depth=2
	v_pk_mov_b32 v[22:23], 0, 0
.LBB5_1498:                             ;   in Loop: Header=BB5_1485 Depth=2
	s_mov_b32 s55, 0
	s_cbranch_execnz .LBB5_1500
.LBB5_1499:                             ;   in Loop: Header=BB5_1485 Depth=2
	global_load_dwordx2 v[22:23], v3, s[4:5]
	s_add_i32 s55, s54, -8
	s_add_u32 s4, s4, 8
	s_addc_u32 s5, s5, 0
.LBB5_1500:                             ;   in Loop: Header=BB5_1485 Depth=2
	s_cmp_gt_u32 s55, 7
	s_cbranch_scc1 .LBB5_1504
; %bb.1501:                             ;   in Loop: Header=BB5_1485 Depth=2
	s_cmp_eq_u32 s55, 0
	s_cbranch_scc1 .LBB5_1505
; %bb.1502:                             ;   in Loop: Header=BB5_1485 Depth=2
	s_mov_b64 s[30:31], 0
	v_pk_mov_b32 v[24:25], 0, 0
	s_mov_b64 s[52:53], 0
.LBB5_1503:                             ;   Parent Loop BB5_278 Depth=1
                                        ;     Parent Loop BB5_1485 Depth=2
                                        ; =>    This Inner Loop Header: Depth=3
	s_add_u32 s56, s4, s52
	s_addc_u32 s57, s5, s53
	global_load_ubyte v2, v3, s[56:57]
	s_add_u32 s52, s52, 1
	s_addc_u32 s53, s53, 0
	s_waitcnt vmcnt(0)
	v_and_b32_e32 v2, 0xffff, v2
	v_lshlrev_b64 v[6:7], s30, v[2:3]
	s_add_u32 s30, s30, 8
	s_addc_u32 s31, s31, 0
	v_or_b32_e32 v24, v6, v24
	s_cmp_lg_u32 s55, s52
	v_or_b32_e32 v25, v7, v25
	s_cbranch_scc1 .LBB5_1503
	s_branch .LBB5_1506
.LBB5_1504:                             ;   in Loop: Header=BB5_1485 Depth=2
                                        ; implicit-def: $sgpr54
	s_branch .LBB5_1507
.LBB5_1505:                             ;   in Loop: Header=BB5_1485 Depth=2
	v_pk_mov_b32 v[24:25], 0, 0
.LBB5_1506:                             ;   in Loop: Header=BB5_1485 Depth=2
	s_mov_b32 s54, 0
	s_cbranch_execnz .LBB5_1508
.LBB5_1507:                             ;   in Loop: Header=BB5_1485 Depth=2
	global_load_dwordx2 v[24:25], v3, s[4:5]
	s_add_i32 s54, s55, -8
	s_add_u32 s4, s4, 8
	s_addc_u32 s5, s5, 0
.LBB5_1508:                             ;   in Loop: Header=BB5_1485 Depth=2
	s_cmp_gt_u32 s54, 7
	s_cbranch_scc1 .LBB5_1512
; %bb.1509:                             ;   in Loop: Header=BB5_1485 Depth=2
	s_cmp_eq_u32 s54, 0
	s_cbranch_scc1 .LBB5_1513
; %bb.1510:                             ;   in Loop: Header=BB5_1485 Depth=2
	s_mov_b64 s[30:31], 0
	v_pk_mov_b32 v[26:27], 0, 0
	s_mov_b64 s[52:53], 0
.LBB5_1511:                             ;   Parent Loop BB5_278 Depth=1
                                        ;     Parent Loop BB5_1485 Depth=2
                                        ; =>    This Inner Loop Header: Depth=3
	s_add_u32 s56, s4, s52
	s_addc_u32 s57, s5, s53
	global_load_ubyte v2, v3, s[56:57]
	s_add_u32 s52, s52, 1
	s_addc_u32 s53, s53, 0
	s_waitcnt vmcnt(0)
	v_and_b32_e32 v2, 0xffff, v2
	v_lshlrev_b64 v[6:7], s30, v[2:3]
	s_add_u32 s30, s30, 8
	s_addc_u32 s31, s31, 0
	v_or_b32_e32 v26, v6, v26
	s_cmp_lg_u32 s54, s52
	v_or_b32_e32 v27, v7, v27
	s_cbranch_scc1 .LBB5_1511
	s_branch .LBB5_1514
.LBB5_1512:                             ;   in Loop: Header=BB5_1485 Depth=2
                                        ; implicit-def: $vgpr26_vgpr27
                                        ; implicit-def: $sgpr55
	s_branch .LBB5_1515
.LBB5_1513:                             ;   in Loop: Header=BB5_1485 Depth=2
	v_pk_mov_b32 v[26:27], 0, 0
.LBB5_1514:                             ;   in Loop: Header=BB5_1485 Depth=2
	s_mov_b32 s55, 0
	s_cbranch_execnz .LBB5_1516
.LBB5_1515:                             ;   in Loop: Header=BB5_1485 Depth=2
	global_load_dwordx2 v[26:27], v3, s[4:5]
	s_add_i32 s55, s54, -8
	s_add_u32 s4, s4, 8
	s_addc_u32 s5, s5, 0
.LBB5_1516:                             ;   in Loop: Header=BB5_1485 Depth=2
	s_cmp_gt_u32 s55, 7
	s_cbranch_scc1 .LBB5_1520
; %bb.1517:                             ;   in Loop: Header=BB5_1485 Depth=2
	s_cmp_eq_u32 s55, 0
	s_cbranch_scc1 .LBB5_1521
; %bb.1518:                             ;   in Loop: Header=BB5_1485 Depth=2
	s_mov_b64 s[30:31], 0
	v_pk_mov_b32 v[28:29], 0, 0
	s_mov_b64 s[52:53], 0
.LBB5_1519:                             ;   Parent Loop BB5_278 Depth=1
                                        ;     Parent Loop BB5_1485 Depth=2
                                        ; =>    This Inner Loop Header: Depth=3
	s_add_u32 s56, s4, s52
	s_addc_u32 s57, s5, s53
	global_load_ubyte v2, v3, s[56:57]
	s_add_u32 s52, s52, 1
	s_addc_u32 s53, s53, 0
	s_waitcnt vmcnt(0)
	v_and_b32_e32 v2, 0xffff, v2
	v_lshlrev_b64 v[6:7], s30, v[2:3]
	s_add_u32 s30, s30, 8
	s_addc_u32 s31, s31, 0
	v_or_b32_e32 v28, v6, v28
	s_cmp_lg_u32 s55, s52
	v_or_b32_e32 v29, v7, v29
	s_cbranch_scc1 .LBB5_1519
	s_branch .LBB5_1522
.LBB5_1520:                             ;   in Loop: Header=BB5_1485 Depth=2
                                        ; implicit-def: $sgpr54
	s_branch .LBB5_1523
.LBB5_1521:                             ;   in Loop: Header=BB5_1485 Depth=2
	v_pk_mov_b32 v[28:29], 0, 0
.LBB5_1522:                             ;   in Loop: Header=BB5_1485 Depth=2
	s_mov_b32 s54, 0
	s_cbranch_execnz .LBB5_1524
.LBB5_1523:                             ;   in Loop: Header=BB5_1485 Depth=2
	global_load_dwordx2 v[28:29], v3, s[4:5]
	s_add_i32 s54, s55, -8
	s_add_u32 s4, s4, 8
	s_addc_u32 s5, s5, 0
.LBB5_1524:                             ;   in Loop: Header=BB5_1485 Depth=2
	s_cmp_gt_u32 s54, 7
	s_cbranch_scc1 .LBB5_1528
; %bb.1525:                             ;   in Loop: Header=BB5_1485 Depth=2
	s_cmp_eq_u32 s54, 0
	s_cbranch_scc1 .LBB5_1529
; %bb.1526:                             ;   in Loop: Header=BB5_1485 Depth=2
	s_mov_b64 s[30:31], 0
	v_pk_mov_b32 v[30:31], 0, 0
	s_mov_b64 s[52:53], 0
.LBB5_1527:                             ;   Parent Loop BB5_278 Depth=1
                                        ;     Parent Loop BB5_1485 Depth=2
                                        ; =>    This Inner Loop Header: Depth=3
	s_add_u32 s56, s4, s52
	s_addc_u32 s57, s5, s53
	global_load_ubyte v2, v3, s[56:57]
	s_add_u32 s52, s52, 1
	s_addc_u32 s53, s53, 0
	s_waitcnt vmcnt(0)
	v_and_b32_e32 v2, 0xffff, v2
	v_lshlrev_b64 v[6:7], s30, v[2:3]
	s_add_u32 s30, s30, 8
	s_addc_u32 s31, s31, 0
	v_or_b32_e32 v30, v6, v30
	s_cmp_lg_u32 s54, s52
	v_or_b32_e32 v31, v7, v31
	s_cbranch_scc1 .LBB5_1527
	s_branch .LBB5_1530
.LBB5_1528:                             ;   in Loop: Header=BB5_1485 Depth=2
                                        ; implicit-def: $vgpr30_vgpr31
                                        ; implicit-def: $sgpr55
	s_branch .LBB5_1531
.LBB5_1529:                             ;   in Loop: Header=BB5_1485 Depth=2
	v_pk_mov_b32 v[30:31], 0, 0
.LBB5_1530:                             ;   in Loop: Header=BB5_1485 Depth=2
	s_mov_b32 s55, 0
	s_cbranch_execnz .LBB5_1532
.LBB5_1531:                             ;   in Loop: Header=BB5_1485 Depth=2
	global_load_dwordx2 v[30:31], v3, s[4:5]
	s_add_i32 s55, s54, -8
	s_add_u32 s4, s4, 8
	s_addc_u32 s5, s5, 0
.LBB5_1532:                             ;   in Loop: Header=BB5_1485 Depth=2
	s_cmp_gt_u32 s55, 7
	s_cbranch_scc1 .LBB5_1536
; %bb.1533:                             ;   in Loop: Header=BB5_1485 Depth=2
	s_cmp_eq_u32 s55, 0
	s_cbranch_scc1 .LBB5_1537
; %bb.1534:                             ;   in Loop: Header=BB5_1485 Depth=2
	s_mov_b64 s[30:31], 0
	v_pk_mov_b32 v[32:33], 0, 0
	s_mov_b64 s[52:53], s[4:5]
.LBB5_1535:                             ;   Parent Loop BB5_278 Depth=1
                                        ;     Parent Loop BB5_1485 Depth=2
                                        ; =>    This Inner Loop Header: Depth=3
	global_load_ubyte v2, v3, s[52:53]
	s_add_i32 s55, s55, -1
	s_waitcnt vmcnt(0)
	v_and_b32_e32 v2, 0xffff, v2
	v_lshlrev_b64 v[6:7], s30, v[2:3]
	s_add_u32 s30, s30, 8
	s_addc_u32 s31, s31, 0
	s_add_u32 s52, s52, 1
	s_addc_u32 s53, s53, 0
	v_or_b32_e32 v32, v6, v32
	s_cmp_lg_u32 s55, 0
	v_or_b32_e32 v33, v7, v33
	s_cbranch_scc1 .LBB5_1535
	s_branch .LBB5_1538
.LBB5_1536:                             ;   in Loop: Header=BB5_1485 Depth=2
	s_branch .LBB5_1539
.LBB5_1537:                             ;   in Loop: Header=BB5_1485 Depth=2
	v_pk_mov_b32 v[32:33], 0, 0
.LBB5_1538:                             ;   in Loop: Header=BB5_1485 Depth=2
	s_cbranch_execnz .LBB5_1540
.LBB5_1539:                             ;   in Loop: Header=BB5_1485 Depth=2
	global_load_dwordx2 v[32:33], v3, s[4:5]
.LBB5_1540:                             ;   in Loop: Header=BB5_1485 Depth=2
	v_readfirstlane_b32 s4, v51
	v_cmp_eq_u32_e64 s[4:5], s4, v51
	v_pk_mov_b32 v[6:7], 0, 0
	s_and_saveexec_b64 s[30:31], s[4:5]
	s_cbranch_execz .LBB5_1546
; %bb.1541:                             ;   in Loop: Header=BB5_1485 Depth=2
	global_load_dwordx2 v[36:37], v3, s[34:35] offset:24 glc
	s_waitcnt vmcnt(0)
	buffer_invl2
	buffer_wbinvl1_vol
	global_load_dwordx2 v[6:7], v3, s[34:35] offset:40
	global_load_dwordx2 v[34:35], v3, s[34:35]
	s_waitcnt vmcnt(1)
	v_and_b32_e32 v2, v6, v36
	v_and_b32_e32 v5, v7, v37
	v_mul_lo_u32 v5, v5, 24
	v_mul_hi_u32 v6, v2, 24
	v_mul_lo_u32 v2, v2, 24
	v_add_u32_e32 v5, v6, v5
	s_waitcnt vmcnt(0)
	v_add_co_u32_e32 v6, vcc, v34, v2
	v_addc_co_u32_e32 v7, vcc, v35, v5, vcc
	global_load_dwordx2 v[34:35], v[6:7], off glc
	s_waitcnt vmcnt(0)
	global_atomic_cmpswap_x2 v[6:7], v3, v[34:37], s[34:35] offset:24 glc
	s_waitcnt vmcnt(0)
	buffer_invl2
	buffer_wbinvl1_vol
	v_cmp_ne_u64_e32 vcc, v[6:7], v[36:37]
	s_and_saveexec_b64 s[52:53], vcc
	s_cbranch_execz .LBB5_1545
; %bb.1542:                             ;   in Loop: Header=BB5_1485 Depth=2
	s_mov_b64 s[54:55], 0
.LBB5_1543:                             ;   Parent Loop BB5_278 Depth=1
                                        ;     Parent Loop BB5_1485 Depth=2
                                        ; =>    This Inner Loop Header: Depth=3
	s_sleep 1
	global_load_dwordx2 v[34:35], v3, s[34:35] offset:40
	global_load_dwordx2 v[38:39], v3, s[34:35]
	v_pk_mov_b32 v[36:37], v[6:7], v[6:7] op_sel:[0,1]
	s_waitcnt vmcnt(1)
	v_and_b32_e32 v2, v34, v36
	s_waitcnt vmcnt(0)
	v_mad_u64_u32 v[6:7], s[56:57], v2, 24, v[38:39]
	v_and_b32_e32 v5, v35, v37
	v_mov_b32_e32 v2, v7
	v_mad_u64_u32 v[34:35], s[56:57], v5, 24, v[2:3]
	v_mov_b32_e32 v7, v34
	global_load_dwordx2 v[34:35], v[6:7], off glc
	s_waitcnt vmcnt(0)
	global_atomic_cmpswap_x2 v[6:7], v3, v[34:37], s[34:35] offset:24 glc
	s_waitcnt vmcnt(0)
	buffer_invl2
	buffer_wbinvl1_vol
	v_cmp_eq_u64_e32 vcc, v[6:7], v[36:37]
	s_or_b64 s[54:55], vcc, s[54:55]
	s_andn2_b64 exec, exec, s[54:55]
	s_cbranch_execnz .LBB5_1543
; %bb.1544:                             ;   in Loop: Header=BB5_1485 Depth=2
	s_or_b64 exec, exec, s[54:55]
.LBB5_1545:                             ;   in Loop: Header=BB5_1485 Depth=2
	s_or_b64 exec, exec, s[52:53]
.LBB5_1546:                             ;   in Loop: Header=BB5_1485 Depth=2
	s_or_b64 exec, exec, s[30:31]
	global_load_dwordx2 v[38:39], v3, s[34:35] offset:40
	global_load_dwordx4 v[34:37], v3, s[34:35]
	v_readfirstlane_b32 s30, v6
	v_readfirstlane_b32 s31, v7
	s_mov_b64 s[52:53], exec
	s_waitcnt vmcnt(1)
	v_readfirstlane_b32 s54, v38
	v_readfirstlane_b32 s55, v39
	s_and_b64 s[54:55], s[30:31], s[54:55]
	s_mul_i32 s56, s55, 24
	s_mul_hi_u32 s57, s54, 24
	s_mul_i32 s58, s54, 24
	s_add_i32 s56, s57, s56
	v_mov_b32_e32 v2, s56
	s_waitcnt vmcnt(0)
	v_add_co_u32_e32 v38, vcc, s58, v34
	v_addc_co_u32_e32 v39, vcc, v35, v2, vcc
	s_and_saveexec_b64 s[56:57], s[4:5]
	s_cbranch_execz .LBB5_1548
; %bb.1547:                             ;   in Loop: Header=BB5_1485 Depth=2
	v_pk_mov_b32 v[6:7], s[52:53], s[52:53] op_sel:[0,1]
	global_store_dwordx4 v[38:39], v[6:9], off offset:8
.LBB5_1548:                             ;   in Loop: Header=BB5_1485 Depth=2
	s_or_b64 exec, exec, s[56:57]
	s_lshl_b64 s[52:53], s[54:55], 12
	v_mov_b32_e32 v2, s53
	v_add_co_u32_e32 v6, vcc, s52, v36
	v_addc_co_u32_e32 v5, vcc, v37, v2, vcc
	v_or_b32_e32 v2, 2, v18
	v_cmp_gt_u64_e64 vcc, s[24:25], 56
	s_lshl_b32 s52, s28, 2
	v_cndmask_b32_e32 v2, v2, v18, vcc
	s_add_i32 s52, s52, 28
	s_and_b32 s52, s52, 0x1e0
	v_and_b32_e32 v2, 0xffffff1f, v2
	v_or_b32_e32 v18, s52, v2
	v_readfirstlane_b32 s52, v6
	v_readfirstlane_b32 s53, v5
	s_nop 4
	global_store_dwordx4 v50, v[18:21], s[52:53]
	global_store_dwordx4 v50, v[22:25], s[52:53] offset:16
	global_store_dwordx4 v50, v[26:29], s[52:53] offset:32
	;; [unrolled: 1-line block ×3, first 2 shown]
	s_and_saveexec_b64 s[52:53], s[4:5]
	s_cbranch_execz .LBB5_1556
; %bb.1549:                             ;   in Loop: Header=BB5_1485 Depth=2
	global_load_dwordx2 v[26:27], v3, s[34:35] offset:32 glc
	global_load_dwordx2 v[18:19], v3, s[34:35] offset:40
	v_mov_b32_e32 v24, s30
	v_mov_b32_e32 v25, s31
	s_waitcnt vmcnt(0)
	v_readfirstlane_b32 s54, v18
	v_readfirstlane_b32 s55, v19
	s_and_b64 s[54:55], s[54:55], s[30:31]
	s_mul_i32 s55, s55, 24
	s_mul_hi_u32 s56, s54, 24
	s_mul_i32 s54, s54, 24
	s_add_i32 s55, s56, s55
	v_mov_b32_e32 v2, s55
	v_add_co_u32_e32 v22, vcc, s54, v34
	v_addc_co_u32_e32 v23, vcc, v35, v2, vcc
	global_store_dwordx2 v[22:23], v[26:27], off
	buffer_wbl2
	s_waitcnt vmcnt(0)
	global_atomic_cmpswap_x2 v[20:21], v3, v[24:27], s[34:35] offset:32 glc
	s_waitcnt vmcnt(0)
	v_cmp_ne_u64_e32 vcc, v[20:21], v[26:27]
	s_and_saveexec_b64 s[54:55], vcc
	s_cbranch_execz .LBB5_1552
; %bb.1550:                             ;   in Loop: Header=BB5_1485 Depth=2
	s_mov_b64 s[56:57], 0
.LBB5_1551:                             ;   Parent Loop BB5_278 Depth=1
                                        ;     Parent Loop BB5_1485 Depth=2
                                        ; =>    This Inner Loop Header: Depth=3
	s_sleep 1
	global_store_dwordx2 v[22:23], v[20:21], off
	v_mov_b32_e32 v18, s30
	v_mov_b32_e32 v19, s31
	buffer_wbl2
	s_waitcnt vmcnt(0)
	global_atomic_cmpswap_x2 v[18:19], v3, v[18:21], s[34:35] offset:32 glc
	s_waitcnt vmcnt(0)
	v_cmp_eq_u64_e32 vcc, v[18:19], v[20:21]
	s_or_b64 s[56:57], vcc, s[56:57]
	v_pk_mov_b32 v[20:21], v[18:19], v[18:19] op_sel:[0,1]
	s_andn2_b64 exec, exec, s[56:57]
	s_cbranch_execnz .LBB5_1551
.LBB5_1552:                             ;   in Loop: Header=BB5_1485 Depth=2
	s_or_b64 exec, exec, s[54:55]
	global_load_dwordx2 v[18:19], v3, s[34:35] offset:16
	s_mov_b64 s[56:57], exec
	v_mbcnt_lo_u32_b32 v2, s56, 0
	v_mbcnt_hi_u32_b32 v2, s57, v2
	v_cmp_eq_u32_e32 vcc, 0, v2
	s_and_saveexec_b64 s[54:55], vcc
	s_cbranch_execz .LBB5_1554
; %bb.1553:                             ;   in Loop: Header=BB5_1485 Depth=2
	s_bcnt1_i32_b64 s56, s[56:57]
	v_mov_b32_e32 v2, s56
	buffer_wbl2
	s_waitcnt vmcnt(0)
	global_atomic_add_x2 v[18:19], v[2:3], off offset:8
.LBB5_1554:                             ;   in Loop: Header=BB5_1485 Depth=2
	s_or_b64 exec, exec, s[54:55]
	s_waitcnt vmcnt(0)
	global_load_dwordx2 v[20:21], v[18:19], off offset:16
	s_waitcnt vmcnt(0)
	v_cmp_eq_u64_e32 vcc, 0, v[20:21]
	s_cbranch_vccnz .LBB5_1556
; %bb.1555:                             ;   in Loop: Header=BB5_1485 Depth=2
	global_load_dword v2, v[18:19], off offset:24
	buffer_wbl2
	s_waitcnt vmcnt(0)
	global_store_dwordx2 v[20:21], v[2:3], off
	v_and_b32_e32 v2, 0xffffff, v2
	v_readfirstlane_b32 m0, v2
	s_sendmsg sendmsg(MSG_INTERRUPT)
.LBB5_1556:                             ;   in Loop: Header=BB5_1485 Depth=2
	s_or_b64 exec, exec, s[52:53]
	v_add_co_u32_e32 v6, vcc, v6, v50
	v_addc_co_u32_e32 v7, vcc, 0, v5, vcc
	s_branch .LBB5_1560
.LBB5_1557:                             ;   in Loop: Header=BB5_1560 Depth=3
	s_or_b64 exec, exec, s[52:53]
	v_readfirstlane_b32 s52, v2
	s_cmp_eq_u32 s52, 0
	s_cbranch_scc1 .LBB5_1559
; %bb.1558:                             ;   in Loop: Header=BB5_1560 Depth=3
	s_sleep 1
	s_cbranch_execnz .LBB5_1560
	s_branch .LBB5_1562
.LBB5_1559:                             ;   in Loop: Header=BB5_1485 Depth=2
	s_branch .LBB5_1562
.LBB5_1560:                             ;   Parent Loop BB5_278 Depth=1
                                        ;     Parent Loop BB5_1485 Depth=2
                                        ; =>    This Inner Loop Header: Depth=3
	v_mov_b32_e32 v2, 1
	s_and_saveexec_b64 s[52:53], s[4:5]
	s_cbranch_execz .LBB5_1557
; %bb.1561:                             ;   in Loop: Header=BB5_1560 Depth=3
	global_load_dword v2, v[38:39], off offset:20 glc
	s_waitcnt vmcnt(0)
	buffer_invl2
	buffer_wbinvl1_vol
	v_and_b32_e32 v2, 1, v2
	s_branch .LBB5_1557
.LBB5_1562:                             ;   in Loop: Header=BB5_1485 Depth=2
	global_load_dwordx4 v[18:21], v[6:7], off
	s_and_saveexec_b64 s[52:53], s[4:5]
	s_cbranch_execz .LBB5_1484
; %bb.1563:                             ;   in Loop: Header=BB5_1485 Depth=2
	global_load_dwordx2 v[6:7], v3, s[34:35] offset:40
	global_load_dwordx2 v[24:25], v3, s[34:35] offset:24 glc
	global_load_dwordx2 v[26:27], v3, s[34:35]
	v_mov_b32_e32 v2, s31
	s_waitcnt vmcnt(2)
	v_add_co_u32_e32 v5, vcc, 1, v6
	v_addc_co_u32_e32 v23, vcc, 0, v7, vcc
	v_add_co_u32_e32 v20, vcc, s30, v5
	v_addc_co_u32_e32 v21, vcc, v23, v2, vcc
	v_cmp_eq_u64_e32 vcc, 0, v[20:21]
	v_cndmask_b32_e32 v21, v21, v23, vcc
	v_cndmask_b32_e32 v20, v20, v5, vcc
	v_and_b32_e32 v2, v21, v7
	v_and_b32_e32 v5, v20, v6
	v_mul_lo_u32 v2, v2, 24
	v_mul_hi_u32 v6, v5, 24
	v_mul_lo_u32 v5, v5, 24
	v_add_u32_e32 v2, v6, v2
	s_waitcnt vmcnt(0)
	v_add_co_u32_e32 v6, vcc, v26, v5
	v_addc_co_u32_e32 v7, vcc, v27, v2, vcc
	v_mov_b32_e32 v22, v24
	global_store_dwordx2 v[6:7], v[24:25], off
	v_mov_b32_e32 v23, v25
	buffer_wbl2
	s_waitcnt vmcnt(0)
	global_atomic_cmpswap_x2 v[22:23], v3, v[20:23], s[34:35] offset:24 glc
	s_waitcnt vmcnt(0)
	v_cmp_ne_u64_e32 vcc, v[22:23], v[24:25]
	s_and_b64 exec, exec, vcc
	s_cbranch_execz .LBB5_1484
; %bb.1564:                             ;   in Loop: Header=BB5_1485 Depth=2
	s_mov_b64 s[4:5], 0
.LBB5_1565:                             ;   Parent Loop BB5_278 Depth=1
                                        ;     Parent Loop BB5_1485 Depth=2
                                        ; =>    This Inner Loop Header: Depth=3
	s_sleep 1
	global_store_dwordx2 v[6:7], v[22:23], off
	buffer_wbl2
	s_waitcnt vmcnt(0)
	global_atomic_cmpswap_x2 v[24:25], v3, v[20:23], s[34:35] offset:24 glc
	s_waitcnt vmcnt(0)
	v_cmp_eq_u64_e32 vcc, v[24:25], v[22:23]
	s_or_b64 s[4:5], vcc, s[4:5]
	v_pk_mov_b32 v[22:23], v[24:25], v[24:25] op_sel:[0,1]
	s_andn2_b64 exec, exec, s[4:5]
	s_cbranch_execnz .LBB5_1565
	s_branch .LBB5_1484
.LBB5_1566:                             ;   in Loop: Header=BB5_278 Depth=1
	s_branch .LBB5_277
.LBB5_1567:                             ;   in Loop: Header=BB5_278 Depth=1
	s_cbranch_execz .LBB5_277
; %bb.1568:                             ;   in Loop: Header=BB5_278 Depth=1
	v_readfirstlane_b32 s4, v51
	v_cmp_eq_u32_e64 s[4:5], s4, v51
	v_pk_mov_b32 v[6:7], 0, 0
	s_and_saveexec_b64 s[22:23], s[4:5]
	s_cbranch_execz .LBB5_1574
; %bb.1569:                             ;   in Loop: Header=BB5_278 Depth=1
	global_load_dwordx2 v[20:21], v3, s[34:35] offset:24 glc
	s_waitcnt vmcnt(0)
	buffer_invl2
	buffer_wbinvl1_vol
	global_load_dwordx2 v[6:7], v3, s[34:35] offset:40
	global_load_dwordx2 v[18:19], v3, s[34:35]
	s_waitcnt vmcnt(1)
	v_and_b32_e32 v2, v6, v20
	v_and_b32_e32 v5, v7, v21
	v_mul_lo_u32 v5, v5, 24
	v_mul_hi_u32 v6, v2, 24
	v_mul_lo_u32 v2, v2, 24
	v_add_u32_e32 v5, v6, v5
	s_waitcnt vmcnt(0)
	v_add_co_u32_e32 v6, vcc, v18, v2
	v_addc_co_u32_e32 v7, vcc, v19, v5, vcc
	global_load_dwordx2 v[18:19], v[6:7], off glc
	s_waitcnt vmcnt(0)
	global_atomic_cmpswap_x2 v[6:7], v3, v[18:21], s[34:35] offset:24 glc
	s_waitcnt vmcnt(0)
	buffer_invl2
	buffer_wbinvl1_vol
	v_cmp_ne_u64_e32 vcc, v[6:7], v[20:21]
	s_and_saveexec_b64 s[24:25], vcc
	s_cbranch_execz .LBB5_1573
; %bb.1570:                             ;   in Loop: Header=BB5_278 Depth=1
	s_mov_b64 s[28:29], 0
.LBB5_1571:                             ;   Parent Loop BB5_278 Depth=1
                                        ; =>  This Inner Loop Header: Depth=2
	s_sleep 1
	global_load_dwordx2 v[18:19], v3, s[34:35] offset:40
	global_load_dwordx2 v[22:23], v3, s[34:35]
	v_pk_mov_b32 v[20:21], v[6:7], v[6:7] op_sel:[0,1]
	s_waitcnt vmcnt(1)
	v_and_b32_e32 v2, v18, v20
	s_waitcnt vmcnt(0)
	v_mad_u64_u32 v[6:7], s[30:31], v2, 24, v[22:23]
	v_and_b32_e32 v5, v19, v21
	v_mov_b32_e32 v2, v7
	v_mad_u64_u32 v[18:19], s[30:31], v5, 24, v[2:3]
	v_mov_b32_e32 v7, v18
	global_load_dwordx2 v[18:19], v[6:7], off glc
	s_waitcnt vmcnt(0)
	global_atomic_cmpswap_x2 v[6:7], v3, v[18:21], s[34:35] offset:24 glc
	s_waitcnt vmcnt(0)
	buffer_invl2
	buffer_wbinvl1_vol
	v_cmp_eq_u64_e32 vcc, v[6:7], v[20:21]
	s_or_b64 s[28:29], vcc, s[28:29]
	s_andn2_b64 exec, exec, s[28:29]
	s_cbranch_execnz .LBB5_1571
; %bb.1572:                             ;   in Loop: Header=BB5_278 Depth=1
	s_or_b64 exec, exec, s[28:29]
.LBB5_1573:                             ;   in Loop: Header=BB5_278 Depth=1
	s_or_b64 exec, exec, s[24:25]
.LBB5_1574:                             ;   in Loop: Header=BB5_278 Depth=1
	s_or_b64 exec, exec, s[22:23]
	global_load_dwordx2 v[22:23], v3, s[34:35] offset:40
	global_load_dwordx4 v[18:21], v3, s[34:35]
	v_readfirstlane_b32 s22, v6
	v_readfirstlane_b32 s23, v7
	s_mov_b64 s[24:25], exec
	s_waitcnt vmcnt(1)
	v_readfirstlane_b32 s28, v22
	v_readfirstlane_b32 s29, v23
	s_and_b64 s[28:29], s[22:23], s[28:29]
	s_mul_i32 s30, s29, 24
	s_mul_hi_u32 s31, s28, 24
	s_mul_i32 s52, s28, 24
	s_add_i32 s30, s31, s30
	v_mov_b32_e32 v2, s30
	s_waitcnt vmcnt(0)
	v_add_co_u32_e32 v22, vcc, s52, v18
	v_addc_co_u32_e32 v23, vcc, v19, v2, vcc
	s_and_saveexec_b64 s[30:31], s[4:5]
	s_cbranch_execz .LBB5_1576
; %bb.1575:                             ;   in Loop: Header=BB5_278 Depth=1
	v_pk_mov_b32 v[6:7], s[24:25], s[24:25] op_sel:[0,1]
	global_store_dwordx4 v[22:23], v[6:9], off offset:8
.LBB5_1576:                             ;   in Loop: Header=BB5_278 Depth=1
	s_or_b64 exec, exec, s[30:31]
	s_lshl_b64 s[24:25], s[28:29], 12
	v_mov_b32_e32 v2, s25
	v_add_co_u32_e32 v6, vcc, s24, v20
	v_addc_co_u32_e32 v5, vcc, v21, v2, vcc
	v_pk_mov_b32 v[26:27], s[10:11], s[10:11] op_sel:[0,1]
	v_and_or_b32 v0, v0, s60, 34
	v_mov_b32_e32 v2, v3
	v_readfirstlane_b32 s24, v6
	v_readfirstlane_b32 s25, v5
	v_pk_mov_b32 v[24:25], s[8:9], s[8:9] op_sel:[0,1]
	s_nop 3
	global_store_dwordx4 v50, v[0:3], s[24:25]
	global_store_dwordx4 v50, v[24:27], s[24:25] offset:16
	global_store_dwordx4 v50, v[24:27], s[24:25] offset:32
	;; [unrolled: 1-line block ×3, first 2 shown]
	s_and_saveexec_b64 s[24:25], s[4:5]
	s_cbranch_execz .LBB5_1584
; %bb.1577:                             ;   in Loop: Header=BB5_278 Depth=1
	global_load_dwordx2 v[26:27], v3, s[34:35] offset:32 glc
	global_load_dwordx2 v[0:1], v3, s[34:35] offset:40
	v_mov_b32_e32 v24, s22
	v_mov_b32_e32 v25, s23
	s_waitcnt vmcnt(0)
	v_readfirstlane_b32 s28, v0
	v_readfirstlane_b32 s29, v1
	s_and_b64 s[28:29], s[28:29], s[22:23]
	s_mul_i32 s29, s29, 24
	s_mul_hi_u32 s30, s28, 24
	s_mul_i32 s28, s28, 24
	s_add_i32 s29, s30, s29
	v_mov_b32_e32 v1, s29
	v_add_co_u32_e32 v0, vcc, s28, v18
	v_addc_co_u32_e32 v1, vcc, v19, v1, vcc
	global_store_dwordx2 v[0:1], v[26:27], off
	buffer_wbl2
	s_waitcnt vmcnt(0)
	global_atomic_cmpswap_x2 v[20:21], v3, v[24:27], s[34:35] offset:32 glc
	s_waitcnt vmcnt(0)
	v_cmp_ne_u64_e32 vcc, v[20:21], v[26:27]
	s_and_saveexec_b64 s[28:29], vcc
	s_cbranch_execz .LBB5_1580
; %bb.1578:                             ;   in Loop: Header=BB5_278 Depth=1
	s_mov_b64 s[30:31], 0
.LBB5_1579:                             ;   Parent Loop BB5_278 Depth=1
                                        ; =>  This Inner Loop Header: Depth=2
	s_sleep 1
	global_store_dwordx2 v[0:1], v[20:21], off
	v_mov_b32_e32 v18, s22
	v_mov_b32_e32 v19, s23
	buffer_wbl2
	s_waitcnt vmcnt(0)
	global_atomic_cmpswap_x2 v[6:7], v3, v[18:21], s[34:35] offset:32 glc
	s_waitcnt vmcnt(0)
	v_cmp_eq_u64_e32 vcc, v[6:7], v[20:21]
	s_or_b64 s[30:31], vcc, s[30:31]
	v_pk_mov_b32 v[20:21], v[6:7], v[6:7] op_sel:[0,1]
	s_andn2_b64 exec, exec, s[30:31]
	s_cbranch_execnz .LBB5_1579
.LBB5_1580:                             ;   in Loop: Header=BB5_278 Depth=1
	s_or_b64 exec, exec, s[28:29]
	global_load_dwordx2 v[0:1], v3, s[34:35] offset:16
	s_mov_b64 s[30:31], exec
	v_mbcnt_lo_u32_b32 v2, s30, 0
	v_mbcnt_hi_u32_b32 v2, s31, v2
	v_cmp_eq_u32_e32 vcc, 0, v2
	s_and_saveexec_b64 s[28:29], vcc
	s_cbranch_execz .LBB5_1582
; %bb.1581:                             ;   in Loop: Header=BB5_278 Depth=1
	s_bcnt1_i32_b64 s30, s[30:31]
	v_mov_b32_e32 v2, s30
	buffer_wbl2
	s_waitcnt vmcnt(0)
	global_atomic_add_x2 v[0:1], v[2:3], off offset:8
.LBB5_1582:                             ;   in Loop: Header=BB5_278 Depth=1
	s_or_b64 exec, exec, s[28:29]
	s_waitcnt vmcnt(0)
	global_load_dwordx2 v[6:7], v[0:1], off offset:16
	s_waitcnt vmcnt(0)
	v_cmp_eq_u64_e32 vcc, 0, v[6:7]
	s_cbranch_vccnz .LBB5_1584
; %bb.1583:                             ;   in Loop: Header=BB5_278 Depth=1
	global_load_dword v2, v[0:1], off offset:24
	s_waitcnt vmcnt(0)
	v_and_b32_e32 v0, 0xffffff, v2
	v_readfirstlane_b32 m0, v0
	buffer_wbl2
	global_store_dwordx2 v[6:7], v[2:3], off
	s_sendmsg sendmsg(MSG_INTERRUPT)
.LBB5_1584:                             ;   in Loop: Header=BB5_278 Depth=1
	s_or_b64 exec, exec, s[24:25]
	s_branch .LBB5_1588
.LBB5_1585:                             ;   in Loop: Header=BB5_1588 Depth=2
	s_or_b64 exec, exec, s[24:25]
	v_readfirstlane_b32 s24, v0
	s_cmp_eq_u32 s24, 0
	s_cbranch_scc1 .LBB5_1587
; %bb.1586:                             ;   in Loop: Header=BB5_1588 Depth=2
	s_sleep 1
	s_cbranch_execnz .LBB5_1588
	s_branch .LBB5_1590
.LBB5_1587:                             ;   in Loop: Header=BB5_278 Depth=1
	s_branch .LBB5_1590
.LBB5_1588:                             ;   Parent Loop BB5_278 Depth=1
                                        ; =>  This Inner Loop Header: Depth=2
	v_mov_b32_e32 v0, 1
	s_and_saveexec_b64 s[24:25], s[4:5]
	s_cbranch_execz .LBB5_1585
; %bb.1589:                             ;   in Loop: Header=BB5_1588 Depth=2
	global_load_dword v0, v[22:23], off offset:20 glc
	s_waitcnt vmcnt(0)
	buffer_invl2
	buffer_wbinvl1_vol
	v_and_b32_e32 v0, 1, v0
	s_branch .LBB5_1585
.LBB5_1590:                             ;   in Loop: Header=BB5_278 Depth=1
	s_and_saveexec_b64 s[24:25], s[4:5]
	s_cbranch_execz .LBB5_276
; %bb.1591:                             ;   in Loop: Header=BB5_278 Depth=1
	global_load_dwordx2 v[0:1], v3, s[34:35] offset:40
	global_load_dwordx2 v[6:7], v3, s[34:35] offset:24 glc
	global_load_dwordx2 v[22:23], v3, s[34:35]
	v_mov_b32_e32 v2, s23
	s_waitcnt vmcnt(2)
	v_add_co_u32_e32 v5, vcc, 1, v0
	v_addc_co_u32_e32 v21, vcc, 0, v1, vcc
	v_add_co_u32_e32 v18, vcc, s22, v5
	v_addc_co_u32_e32 v19, vcc, v21, v2, vcc
	v_cmp_eq_u64_e32 vcc, 0, v[18:19]
	v_cndmask_b32_e32 v19, v19, v21, vcc
	v_cndmask_b32_e32 v18, v18, v5, vcc
	v_and_b32_e32 v1, v19, v1
	v_and_b32_e32 v0, v18, v0
	v_mul_lo_u32 v1, v1, 24
	v_mul_hi_u32 v2, v0, 24
	v_mul_lo_u32 v0, v0, 24
	v_add_u32_e32 v1, v2, v1
	s_waitcnt vmcnt(0)
	v_add_co_u32_e32 v0, vcc, v22, v0
	v_addc_co_u32_e32 v1, vcc, v23, v1, vcc
	v_mov_b32_e32 v20, v6
	global_store_dwordx2 v[0:1], v[6:7], off
	v_mov_b32_e32 v21, v7
	buffer_wbl2
	s_waitcnt vmcnt(0)
	global_atomic_cmpswap_x2 v[20:21], v3, v[18:21], s[34:35] offset:24 glc
	s_waitcnt vmcnt(0)
	v_cmp_ne_u64_e32 vcc, v[20:21], v[6:7]
	s_and_b64 exec, exec, vcc
	s_cbranch_execz .LBB5_276
; %bb.1592:                             ;   in Loop: Header=BB5_278 Depth=1
	s_mov_b64 s[4:5], 0
.LBB5_1593:                             ;   Parent Loop BB5_278 Depth=1
                                        ; =>  This Inner Loop Header: Depth=2
	s_sleep 1
	global_store_dwordx2 v[0:1], v[20:21], off
	buffer_wbl2
	s_waitcnt vmcnt(0)
	global_atomic_cmpswap_x2 v[6:7], v3, v[18:21], s[34:35] offset:24 glc
	s_waitcnt vmcnt(0)
	v_cmp_eq_u64_e32 vcc, v[6:7], v[20:21]
	s_or_b64 s[4:5], vcc, s[4:5]
	v_pk_mov_b32 v[20:21], v[6:7], v[6:7] op_sel:[0,1]
	s_andn2_b64 exec, exec, s[4:5]
	s_cbranch_execnz .LBB5_1593
	s_branch .LBB5_276
.LBB5_1594:
	v_mov_b32_e32 v41, 0
	global_load_dword v38, v41, s[40:41]
	s_waitcnt vmcnt(0)
	v_cmp_gt_i32_e32 vcc, 1, v38
	s_cbranch_vccnz .LBB5_1654
; %bb.1595:
	s_getpc_b64 s[4:5]
	s_add_u32 s4, s4, .str.2@rel32@lo+4
	s_addc_u32 s5, s5, .str.2@rel32@hi+12
	s_getpc_b64 s[6:7]
	s_add_u32 s6, s6, .str.9@rel32@lo+4
	s_addc_u32 s7, s7, .str.9@rel32@hi+12
	s_cmp_lg_u64 s[4:5], 0
	s_cselect_b64 s[4:5], -1, 0
	v_cndmask_b32_e64 v0, 0, 1, s[4:5]
	s_cmp_lg_u64 s[6:7], 0
	s_mov_b32 s51, 0
	v_lshlrev_b32_e32 v33, 2, v0
	s_cselect_b32 s25, 6, 0
	s_mov_b32 s44, s51
	s_mov_b32 s45, s51
	;; [unrolled: 1-line block ×4, first 2 shown]
	s_movk_i32 s33, 0xff1d
	v_mov_b32_e32 v44, 2
	v_mov_b32_e32 v45, 1
	;; [unrolled: 1-line block ×6, first 2 shown]
	s_mov_b32 s50, s51
	s_branch .LBB5_1597
.LBB5_1596:                             ;   in Loop: Header=BB5_1597 Depth=1
	s_add_u32 s28, s26, 0x48
	s_addc_u32 s29, s27, 0
	s_mov_b64 s[8:9], s[28:29]
	v_mov_b32_e32 v2, s52
	v_mov_b32_e32 v3, s53
	;; [unrolled: 1-line block ×5, first 2 shown]
	v_ashrrev_i32_e32 v38, 1, v38
	s_getpc_b64 s[6:7]
	s_add_u32 s6, s6, __ockl_printf_append_string_n@rel32@lo+4
	s_addc_u32 s7, s7, __ockl_printf_append_string_n@rel32@hi+12
	s_swappc_b64 s[30:31], s[6:7]
	s_mov_b64 s[8:9], s[28:29]
	v_mov_b32_e32 v2, v38
	v_mov_b32_e32 v3, 0
	;; [unrolled: 1-line block ×3, first 2 shown]
	s_getpc_b64 s[4:5]
	s_add_u32 s4, s4, __ockl_printf_append_args@rel32@lo+4
	s_addc_u32 s5, s5, __ockl_printf_append_args@rel32@hi+12
	s_swappc_b64 s[30:31], s[4:5]
	global_load_dword v38, v41, s[40:41]
	s_add_i32 s50, s50, 1
	s_waitcnt vmcnt(0)
	v_cmp_ge_i32_e32 vcc, s50, v38
	s_cbranch_vccnz .LBB5_1653
.LBB5_1597:                             ; =>This Loop Header: Depth=1
                                        ;     Child Loop BB5_1600 Depth 2
                                        ;     Child Loop BB5_1608 Depth 2
	;; [unrolled: 1-line block ×9, first 2 shown]
	global_load_dword v38, v41, s[36:37]
	v_readfirstlane_b32 s4, v51
	v_cmp_eq_u32_e64 s[4:5], s4, v51
	v_pk_mov_b32 v[4:5], 0, 0
	s_and_saveexec_b64 s[6:7], s[4:5]
	s_cbranch_execz .LBB5_1603
; %bb.1598:                             ;   in Loop: Header=BB5_1597 Depth=1
	global_load_dwordx2 v[2:3], v41, s[34:35] offset:24 glc
	s_waitcnt vmcnt(0)
	buffer_invl2
	buffer_wbinvl1_vol
	global_load_dwordx2 v[0:1], v41, s[34:35] offset:40
	global_load_dwordx2 v[4:5], v41, s[34:35]
	s_waitcnt vmcnt(1)
	v_and_b32_e32 v0, v0, v2
	v_and_b32_e32 v1, v1, v3
	v_mul_lo_u32 v1, v1, 24
	v_mul_hi_u32 v6, v0, 24
	v_mul_lo_u32 v0, v0, 24
	v_add_u32_e32 v1, v6, v1
	s_waitcnt vmcnt(0)
	v_add_co_u32_e32 v0, vcc, v4, v0
	v_addc_co_u32_e32 v1, vcc, v5, v1, vcc
	global_load_dwordx2 v[0:1], v[0:1], off glc
	s_waitcnt vmcnt(0)
	global_atomic_cmpswap_x2 v[4:5], v41, v[0:3], s[34:35] offset:24 glc
	s_waitcnt vmcnt(0)
	buffer_invl2
	buffer_wbinvl1_vol
	v_cmp_ne_u64_e32 vcc, v[4:5], v[2:3]
	s_and_saveexec_b64 s[8:9], vcc
	s_cbranch_execz .LBB5_1602
; %bb.1599:                             ;   in Loop: Header=BB5_1597 Depth=1
	s_mov_b64 s[10:11], 0
.LBB5_1600:                             ;   Parent Loop BB5_1597 Depth=1
                                        ; =>  This Inner Loop Header: Depth=2
	s_sleep 1
	global_load_dwordx2 v[0:1], v41, s[34:35] offset:40
	global_load_dwordx2 v[6:7], v41, s[34:35]
	v_pk_mov_b32 v[2:3], v[4:5], v[4:5] op_sel:[0,1]
	s_waitcnt vmcnt(1)
	v_and_b32_e32 v0, v0, v2
	v_and_b32_e32 v5, v1, v3
	s_waitcnt vmcnt(0)
	v_mad_u64_u32 v[0:1], s[12:13], v0, 24, v[6:7]
	v_mov_b32_e32 v4, v1
	v_mad_u64_u32 v[4:5], s[12:13], v5, 24, v[4:5]
	v_mov_b32_e32 v1, v4
	global_load_dwordx2 v[0:1], v[0:1], off glc
	s_waitcnt vmcnt(0)
	global_atomic_cmpswap_x2 v[4:5], v41, v[0:3], s[34:35] offset:24 glc
	s_waitcnt vmcnt(0)
	buffer_invl2
	buffer_wbinvl1_vol
	v_cmp_eq_u64_e32 vcc, v[4:5], v[2:3]
	s_or_b64 s[10:11], vcc, s[10:11]
	s_andn2_b64 exec, exec, s[10:11]
	s_cbranch_execnz .LBB5_1600
; %bb.1601:                             ;   in Loop: Header=BB5_1597 Depth=1
	s_or_b64 exec, exec, s[10:11]
.LBB5_1602:                             ;   in Loop: Header=BB5_1597 Depth=1
	s_or_b64 exec, exec, s[8:9]
.LBB5_1603:                             ;   in Loop: Header=BB5_1597 Depth=1
	s_or_b64 exec, exec, s[6:7]
	global_load_dwordx2 v[6:7], v41, s[34:35] offset:40
	global_load_dwordx4 v[0:3], v41, s[34:35]
	v_readfirstlane_b32 s6, v4
	v_readfirstlane_b32 s7, v5
	s_mov_b64 s[8:9], exec
	s_waitcnt vmcnt(1)
	v_readfirstlane_b32 s10, v6
	v_readfirstlane_b32 s11, v7
	s_and_b64 s[10:11], s[6:7], s[10:11]
	s_mul_i32 s12, s11, 24
	s_mul_hi_u32 s13, s10, 24
	s_mul_i32 s14, s10, 24
	s_add_i32 s12, s13, s12
	v_mov_b32_e32 v5, s12
	s_waitcnt vmcnt(0)
	v_add_co_u32_e32 v4, vcc, s14, v0
	v_addc_co_u32_e32 v5, vcc, v1, v5, vcc
	s_and_saveexec_b64 s[12:13], s[4:5]
	s_cbranch_execz .LBB5_1605
; %bb.1604:                             ;   in Loop: Header=BB5_1597 Depth=1
	v_pk_mov_b32 v[42:43], s[8:9], s[8:9] op_sel:[0,1]
	global_store_dwordx4 v[4:5], v[42:45], off offset:8
.LBB5_1605:                             ;   in Loop: Header=BB5_1597 Depth=1
	s_or_b64 exec, exec, s[12:13]
	s_lshl_b64 s[8:9], s[10:11], 12
	v_mov_b32_e32 v7, s9
	v_add_co_u32_e32 v6, vcc, s8, v2
	v_addc_co_u32_e32 v7, vcc, v3, v7, vcc
	v_pk_mov_b32 v[8:9], s[44:45], s[44:45] op_sel:[0,1]
	v_readfirstlane_b32 s8, v6
	v_readfirstlane_b32 s9, v7
	v_pk_mov_b32 v[10:11], s[46:47], s[46:47] op_sel:[0,1]
	s_nop 3
	global_store_dwordx4 v50, v[46:49], s[8:9]
	global_store_dwordx4 v50, v[8:11], s[8:9] offset:16
	global_store_dwordx4 v50, v[8:11], s[8:9] offset:32
	;; [unrolled: 1-line block ×3, first 2 shown]
	s_and_saveexec_b64 s[8:9], s[4:5]
	s_cbranch_execz .LBB5_1613
; %bb.1606:                             ;   in Loop: Header=BB5_1597 Depth=1
	global_load_dwordx2 v[12:13], v41, s[34:35] offset:32 glc
	global_load_dwordx2 v[2:3], v41, s[34:35] offset:40
	v_mov_b32_e32 v10, s6
	v_mov_b32_e32 v11, s7
	s_waitcnt vmcnt(0)
	v_readfirstlane_b32 s10, v2
	v_readfirstlane_b32 s11, v3
	s_and_b64 s[10:11], s[10:11], s[6:7]
	s_mul_i32 s11, s11, 24
	s_mul_hi_u32 s12, s10, 24
	s_mul_i32 s10, s10, 24
	s_add_i32 s11, s12, s11
	v_mov_b32_e32 v2, s11
	v_add_co_u32_e32 v8, vcc, s10, v0
	v_addc_co_u32_e32 v9, vcc, v1, v2, vcc
	global_store_dwordx2 v[8:9], v[12:13], off
	buffer_wbl2
	s_waitcnt vmcnt(0)
	global_atomic_cmpswap_x2 v[2:3], v41, v[10:13], s[34:35] offset:32 glc
	s_waitcnt vmcnt(0)
	v_cmp_ne_u64_e32 vcc, v[2:3], v[12:13]
	s_and_saveexec_b64 s[10:11], vcc
	s_cbranch_execz .LBB5_1609
; %bb.1607:                             ;   in Loop: Header=BB5_1597 Depth=1
	s_mov_b64 s[12:13], 0
.LBB5_1608:                             ;   Parent Loop BB5_1597 Depth=1
                                        ; =>  This Inner Loop Header: Depth=2
	s_sleep 1
	global_store_dwordx2 v[8:9], v[2:3], off
	v_mov_b32_e32 v0, s6
	v_mov_b32_e32 v1, s7
	buffer_wbl2
	s_waitcnt vmcnt(0)
	global_atomic_cmpswap_x2 v[0:1], v41, v[0:3], s[34:35] offset:32 glc
	s_waitcnt vmcnt(0)
	v_cmp_eq_u64_e32 vcc, v[0:1], v[2:3]
	s_or_b64 s[12:13], vcc, s[12:13]
	v_pk_mov_b32 v[2:3], v[0:1], v[0:1] op_sel:[0,1]
	s_andn2_b64 exec, exec, s[12:13]
	s_cbranch_execnz .LBB5_1608
.LBB5_1609:                             ;   in Loop: Header=BB5_1597 Depth=1
	s_or_b64 exec, exec, s[10:11]
	global_load_dwordx2 v[0:1], v41, s[34:35] offset:16
	s_mov_b64 s[12:13], exec
	v_mbcnt_lo_u32_b32 v2, s12, 0
	v_mbcnt_hi_u32_b32 v2, s13, v2
	v_cmp_eq_u32_e32 vcc, 0, v2
	s_and_saveexec_b64 s[10:11], vcc
	s_cbranch_execz .LBB5_1611
; %bb.1610:                             ;   in Loop: Header=BB5_1597 Depth=1
	s_bcnt1_i32_b64 s12, s[12:13]
	v_mov_b32_e32 v40, s12
	buffer_wbl2
	s_waitcnt vmcnt(0)
	global_atomic_add_x2 v[0:1], v[40:41], off offset:8
.LBB5_1611:                             ;   in Loop: Header=BB5_1597 Depth=1
	s_or_b64 exec, exec, s[10:11]
	s_waitcnt vmcnt(0)
	global_load_dwordx2 v[2:3], v[0:1], off offset:16
	s_waitcnt vmcnt(0)
	v_cmp_eq_u64_e32 vcc, 0, v[2:3]
	s_cbranch_vccnz .LBB5_1613
; %bb.1612:                             ;   in Loop: Header=BB5_1597 Depth=1
	global_load_dword v40, v[0:1], off offset:24
	s_waitcnt vmcnt(0)
	v_and_b32_e32 v0, 0xffffff, v40
	v_readfirstlane_b32 m0, v0
	buffer_wbl2
	global_store_dwordx2 v[2:3], v[40:41], off
	s_sendmsg sendmsg(MSG_INTERRUPT)
.LBB5_1613:                             ;   in Loop: Header=BB5_1597 Depth=1
	s_or_b64 exec, exec, s[8:9]
	v_add_co_u32_e32 v0, vcc, v6, v50
	v_addc_co_u32_e32 v1, vcc, 0, v7, vcc
	s_branch .LBB5_1617
.LBB5_1614:                             ;   in Loop: Header=BB5_1617 Depth=2
	s_or_b64 exec, exec, s[8:9]
	v_readfirstlane_b32 s8, v2
	s_cmp_eq_u32 s8, 0
	s_cbranch_scc1 .LBB5_1616
; %bb.1615:                             ;   in Loop: Header=BB5_1617 Depth=2
	s_sleep 1
	s_cbranch_execnz .LBB5_1617
	s_branch .LBB5_1619
.LBB5_1616:                             ;   in Loop: Header=BB5_1597 Depth=1
	s_branch .LBB5_1619
.LBB5_1617:                             ;   Parent Loop BB5_1597 Depth=1
                                        ; =>  This Inner Loop Header: Depth=2
	v_mov_b32_e32 v2, 1
	s_and_saveexec_b64 s[8:9], s[4:5]
	s_cbranch_execz .LBB5_1614
; %bb.1618:                             ;   in Loop: Header=BB5_1617 Depth=2
	global_load_dword v2, v[4:5], off offset:20 glc
	s_waitcnt vmcnt(0)
	buffer_invl2
	buffer_wbinvl1_vol
	v_and_b32_e32 v2, 1, v2
	s_branch .LBB5_1614
.LBB5_1619:                             ;   in Loop: Header=BB5_1597 Depth=1
	global_load_dwordx2 v[0:1], v[0:1], off
	s_and_saveexec_b64 s[8:9], s[4:5]
	s_cbranch_execz .LBB5_1623
; %bb.1620:                             ;   in Loop: Header=BB5_1597 Depth=1
	global_load_dwordx2 v[6:7], v41, s[34:35] offset:40
	global_load_dwordx2 v[8:9], v41, s[34:35] offset:24 glc
	global_load_dwordx2 v[10:11], v41, s[34:35]
	v_mov_b32_e32 v3, s7
	s_waitcnt vmcnt(2)
	v_add_co_u32_e32 v5, vcc, 1, v6
	v_addc_co_u32_e32 v12, vcc, 0, v7, vcc
	v_add_co_u32_e32 v2, vcc, s6, v5
	v_addc_co_u32_e32 v3, vcc, v12, v3, vcc
	v_cmp_eq_u64_e32 vcc, 0, v[2:3]
	v_cndmask_b32_e32 v3, v3, v12, vcc
	v_cndmask_b32_e32 v2, v2, v5, vcc
	v_and_b32_e32 v5, v3, v7
	v_and_b32_e32 v6, v2, v6
	v_mul_lo_u32 v5, v5, 24
	v_mul_hi_u32 v7, v6, 24
	v_mul_lo_u32 v6, v6, 24
	v_add_u32_e32 v5, v7, v5
	s_waitcnt vmcnt(0)
	v_add_co_u32_e32 v6, vcc, v10, v6
	v_addc_co_u32_e32 v7, vcc, v11, v5, vcc
	v_mov_b32_e32 v4, v8
	global_store_dwordx2 v[6:7], v[8:9], off
	v_mov_b32_e32 v5, v9
	buffer_wbl2
	s_waitcnt vmcnt(0)
	global_atomic_cmpswap_x2 v[4:5], v41, v[2:5], s[34:35] offset:24 glc
	s_waitcnt vmcnt(0)
	v_cmp_ne_u64_e32 vcc, v[4:5], v[8:9]
	s_and_b64 exec, exec, vcc
	s_cbranch_execz .LBB5_1623
; %bb.1621:                             ;   in Loop: Header=BB5_1597 Depth=1
	s_mov_b64 s[4:5], 0
.LBB5_1622:                             ;   Parent Loop BB5_1597 Depth=1
                                        ; =>  This Inner Loop Header: Depth=2
	s_sleep 1
	global_store_dwordx2 v[6:7], v[4:5], off
	buffer_wbl2
	s_waitcnt vmcnt(0)
	global_atomic_cmpswap_x2 v[8:9], v41, v[2:5], s[34:35] offset:24 glc
	s_waitcnt vmcnt(0)
	v_cmp_eq_u64_e32 vcc, v[8:9], v[4:5]
	s_or_b64 s[4:5], vcc, s[4:5]
	v_pk_mov_b32 v[4:5], v[8:9], v[8:9] op_sel:[0,1]
	s_andn2_b64 exec, exec, s[4:5]
	s_cbranch_execnz .LBB5_1622
.LBB5_1623:                             ;   in Loop: Header=BB5_1597 Depth=1
	s_or_b64 exec, exec, s[8:9]
	s_add_u32 s8, s26, 0x48
	s_addc_u32 s9, s27, 0
	s_getpc_b64 s[4:5]
	s_add_u32 s4, s4, .str.2@rel32@lo+4
	s_addc_u32 s5, s5, .str.2@rel32@hi+12
	v_mov_b32_e32 v2, s4
	v_mov_b32_e32 v3, s5
	;; [unrolled: 1-line block ×5, first 2 shown]
	s_getpc_b64 s[6:7]
	s_add_u32 s6, s6, __ockl_printf_append_string_n@rel32@lo+4
	s_addc_u32 s7, s7, __ockl_printf_append_string_n@rel32@hi+12
	s_swappc_b64 s[30:31], s[6:7]
	v_readfirstlane_b32 s4, v51
	v_mov_b32_e32 v39, v1
	v_cmp_eq_u32_e64 s[4:5], s4, v51
	v_pk_mov_b32 v[6:7], 0, 0
	s_and_saveexec_b64 s[6:7], s[4:5]
	s_cbranch_execz .LBB5_1629
; %bb.1624:                             ;   in Loop: Header=BB5_1597 Depth=1
	global_load_dwordx2 v[4:5], v41, s[34:35] offset:24 glc
	s_waitcnt vmcnt(0)
	buffer_invl2
	buffer_wbinvl1_vol
	global_load_dwordx2 v[2:3], v41, s[34:35] offset:40
	global_load_dwordx2 v[6:7], v41, s[34:35]
	s_waitcnt vmcnt(1)
	v_and_b32_e32 v1, v2, v4
	v_and_b32_e32 v2, v3, v5
	v_mul_lo_u32 v2, v2, 24
	v_mul_hi_u32 v3, v1, 24
	v_mul_lo_u32 v1, v1, 24
	v_add_u32_e32 v3, v3, v2
	s_waitcnt vmcnt(0)
	v_add_co_u32_e32 v2, vcc, v6, v1
	v_addc_co_u32_e32 v3, vcc, v7, v3, vcc
	global_load_dwordx2 v[2:3], v[2:3], off glc
	s_waitcnt vmcnt(0)
	global_atomic_cmpswap_x2 v[6:7], v41, v[2:5], s[34:35] offset:24 glc
	s_waitcnt vmcnt(0)
	buffer_invl2
	buffer_wbinvl1_vol
	v_cmp_ne_u64_e32 vcc, v[6:7], v[4:5]
	s_and_saveexec_b64 s[8:9], vcc
	s_cbranch_execz .LBB5_1628
; %bb.1625:                             ;   in Loop: Header=BB5_1597 Depth=1
	s_mov_b64 s[10:11], 0
.LBB5_1626:                             ;   Parent Loop BB5_1597 Depth=1
                                        ; =>  This Inner Loop Header: Depth=2
	s_sleep 1
	global_load_dwordx2 v[2:3], v41, s[34:35] offset:40
	global_load_dwordx2 v[8:9], v41, s[34:35]
	v_pk_mov_b32 v[4:5], v[6:7], v[6:7] op_sel:[0,1]
	s_waitcnt vmcnt(1)
	v_and_b32_e32 v2, v2, v4
	v_and_b32_e32 v1, v3, v5
	s_waitcnt vmcnt(0)
	v_mad_u64_u32 v[2:3], s[12:13], v2, 24, v[8:9]
	v_mov_b32_e32 v6, v3
	v_mad_u64_u32 v[6:7], s[12:13], v1, 24, v[6:7]
	v_mov_b32_e32 v3, v6
	global_load_dwordx2 v[2:3], v[2:3], off glc
	s_waitcnt vmcnt(0)
	global_atomic_cmpswap_x2 v[6:7], v41, v[2:5], s[34:35] offset:24 glc
	s_waitcnt vmcnt(0)
	buffer_invl2
	buffer_wbinvl1_vol
	v_cmp_eq_u64_e32 vcc, v[6:7], v[4:5]
	s_or_b64 s[10:11], vcc, s[10:11]
	s_andn2_b64 exec, exec, s[10:11]
	s_cbranch_execnz .LBB5_1626
; %bb.1627:                             ;   in Loop: Header=BB5_1597 Depth=1
	s_or_b64 exec, exec, s[10:11]
.LBB5_1628:                             ;   in Loop: Header=BB5_1597 Depth=1
	s_or_b64 exec, exec, s[8:9]
.LBB5_1629:                             ;   in Loop: Header=BB5_1597 Depth=1
	s_or_b64 exec, exec, s[6:7]
	global_load_dwordx2 v[8:9], v41, s[34:35] offset:40
	global_load_dwordx4 v[2:5], v41, s[34:35]
	v_readfirstlane_b32 s6, v6
	v_readfirstlane_b32 s7, v7
	s_mov_b64 s[8:9], exec
	s_waitcnt vmcnt(1)
	v_readfirstlane_b32 s10, v8
	v_readfirstlane_b32 s11, v9
	s_and_b64 s[10:11], s[6:7], s[10:11]
	s_mul_i32 s12, s11, 24
	s_mul_hi_u32 s13, s10, 24
	s_mul_i32 s14, s10, 24
	s_add_i32 s12, s13, s12
	v_mov_b32_e32 v1, s12
	s_waitcnt vmcnt(0)
	v_add_co_u32_e32 v6, vcc, s14, v2
	v_addc_co_u32_e32 v7, vcc, v3, v1, vcc
	s_and_saveexec_b64 s[12:13], s[4:5]
	s_cbranch_execz .LBB5_1631
; %bb.1630:                             ;   in Loop: Header=BB5_1597 Depth=1
	v_pk_mov_b32 v[42:43], s[8:9], s[8:9] op_sel:[0,1]
	global_store_dwordx4 v[6:7], v[42:45], off offset:8
.LBB5_1631:                             ;   in Loop: Header=BB5_1597 Depth=1
	s_or_b64 exec, exec, s[12:13]
	s_lshl_b64 s[8:9], s[10:11], 12
	v_mov_b32_e32 v1, s9
	v_add_co_u32_e32 v4, vcc, s8, v4
	v_addc_co_u32_e32 v1, vcc, v5, v1, vcc
	v_pk_mov_b32 v[8:9], s[44:45], s[44:45] op_sel:[0,1]
	v_add_u32_e32 v40, s50, v38
	v_and_or_b32 v38, v0, s33, 34
	v_readfirstlane_b32 s8, v4
	v_readfirstlane_b32 s9, v1
	v_pk_mov_b32 v[10:11], s[46:47], s[46:47] op_sel:[0,1]
	s_nop 3
	global_store_dwordx4 v50, v[38:41], s[8:9]
	global_store_dwordx4 v50, v[8:11], s[8:9] offset:16
	global_store_dwordx4 v50, v[8:11], s[8:9] offset:32
	;; [unrolled: 1-line block ×3, first 2 shown]
	s_and_saveexec_b64 s[8:9], s[4:5]
	s_cbranch_execz .LBB5_1639
; %bb.1632:                             ;   in Loop: Header=BB5_1597 Depth=1
	global_load_dwordx2 v[10:11], v41, s[34:35] offset:32 glc
	global_load_dwordx2 v[0:1], v41, s[34:35] offset:40
	v_mov_b32_e32 v8, s6
	v_mov_b32_e32 v9, s7
	s_waitcnt vmcnt(0)
	v_readfirstlane_b32 s10, v0
	v_readfirstlane_b32 s11, v1
	s_and_b64 s[10:11], s[10:11], s[6:7]
	s_mul_i32 s11, s11, 24
	s_mul_hi_u32 s12, s10, 24
	s_mul_i32 s10, s10, 24
	s_add_i32 s11, s12, s11
	v_mov_b32_e32 v0, s11
	v_add_co_u32_e32 v4, vcc, s10, v2
	v_addc_co_u32_e32 v5, vcc, v3, v0, vcc
	global_store_dwordx2 v[4:5], v[10:11], off
	buffer_wbl2
	s_waitcnt vmcnt(0)
	global_atomic_cmpswap_x2 v[2:3], v41, v[8:11], s[34:35] offset:32 glc
	s_waitcnt vmcnt(0)
	v_cmp_ne_u64_e32 vcc, v[2:3], v[10:11]
	s_and_saveexec_b64 s[10:11], vcc
	s_cbranch_execz .LBB5_1635
; %bb.1633:                             ;   in Loop: Header=BB5_1597 Depth=1
	s_mov_b64 s[12:13], 0
.LBB5_1634:                             ;   Parent Loop BB5_1597 Depth=1
                                        ; =>  This Inner Loop Header: Depth=2
	s_sleep 1
	global_store_dwordx2 v[4:5], v[2:3], off
	v_mov_b32_e32 v0, s6
	v_mov_b32_e32 v1, s7
	buffer_wbl2
	s_waitcnt vmcnt(0)
	global_atomic_cmpswap_x2 v[0:1], v41, v[0:3], s[34:35] offset:32 glc
	s_waitcnt vmcnt(0)
	v_cmp_eq_u64_e32 vcc, v[0:1], v[2:3]
	s_or_b64 s[12:13], vcc, s[12:13]
	v_pk_mov_b32 v[2:3], v[0:1], v[0:1] op_sel:[0,1]
	s_andn2_b64 exec, exec, s[12:13]
	s_cbranch_execnz .LBB5_1634
.LBB5_1635:                             ;   in Loop: Header=BB5_1597 Depth=1
	s_or_b64 exec, exec, s[10:11]
	global_load_dwordx2 v[0:1], v41, s[34:35] offset:16
	s_mov_b64 s[12:13], exec
	v_mbcnt_lo_u32_b32 v2, s12, 0
	v_mbcnt_hi_u32_b32 v2, s13, v2
	v_cmp_eq_u32_e32 vcc, 0, v2
	s_and_saveexec_b64 s[10:11], vcc
	s_cbranch_execz .LBB5_1637
; %bb.1636:                             ;   in Loop: Header=BB5_1597 Depth=1
	s_bcnt1_i32_b64 s12, s[12:13]
	v_mov_b32_e32 v40, s12
	buffer_wbl2
	s_waitcnt vmcnt(0)
	global_atomic_add_x2 v[0:1], v[40:41], off offset:8
.LBB5_1637:                             ;   in Loop: Header=BB5_1597 Depth=1
	s_or_b64 exec, exec, s[10:11]
	s_waitcnt vmcnt(0)
	global_load_dwordx2 v[2:3], v[0:1], off offset:16
	s_waitcnt vmcnt(0)
	v_cmp_eq_u64_e32 vcc, 0, v[2:3]
	s_cbranch_vccnz .LBB5_1639
; %bb.1638:                             ;   in Loop: Header=BB5_1597 Depth=1
	global_load_dword v40, v[0:1], off offset:24
	s_waitcnt vmcnt(0)
	v_and_b32_e32 v0, 0xffffff, v40
	v_readfirstlane_b32 m0, v0
	buffer_wbl2
	global_store_dwordx2 v[2:3], v[40:41], off
	s_sendmsg sendmsg(MSG_INTERRUPT)
.LBB5_1639:                             ;   in Loop: Header=BB5_1597 Depth=1
	s_or_b64 exec, exec, s[8:9]
	s_branch .LBB5_1643
.LBB5_1640:                             ;   in Loop: Header=BB5_1643 Depth=2
	s_or_b64 exec, exec, s[8:9]
	v_readfirstlane_b32 s8, v0
	s_cmp_eq_u32 s8, 0
	s_cbranch_scc1 .LBB5_1642
; %bb.1641:                             ;   in Loop: Header=BB5_1643 Depth=2
	s_sleep 1
	s_cbranch_execnz .LBB5_1643
	s_branch .LBB5_1645
.LBB5_1642:                             ;   in Loop: Header=BB5_1597 Depth=1
	s_branch .LBB5_1645
.LBB5_1643:                             ;   Parent Loop BB5_1597 Depth=1
                                        ; =>  This Inner Loop Header: Depth=2
	v_mov_b32_e32 v0, 1
	s_and_saveexec_b64 s[8:9], s[4:5]
	s_cbranch_execz .LBB5_1640
; %bb.1644:                             ;   in Loop: Header=BB5_1643 Depth=2
	global_load_dword v0, v[6:7], off offset:20 glc
	s_waitcnt vmcnt(0)
	buffer_invl2
	buffer_wbinvl1_vol
	v_and_b32_e32 v0, 1, v0
	s_branch .LBB5_1640
.LBB5_1645:                             ;   in Loop: Header=BB5_1597 Depth=1
	s_and_saveexec_b64 s[8:9], s[4:5]
	s_cbranch_execz .LBB5_1649
; %bb.1646:                             ;   in Loop: Header=BB5_1597 Depth=1
	global_load_dwordx2 v[4:5], v41, s[34:35] offset:40
	global_load_dwordx2 v[6:7], v41, s[34:35] offset:24 glc
	global_load_dwordx2 v[8:9], v41, s[34:35]
	v_mov_b32_e32 v1, s7
	s_waitcnt vmcnt(2)
	v_add_co_u32_e32 v3, vcc, 1, v4
	v_addc_co_u32_e32 v10, vcc, 0, v5, vcc
	v_add_co_u32_e32 v0, vcc, s6, v3
	v_addc_co_u32_e32 v1, vcc, v10, v1, vcc
	v_cmp_eq_u64_e32 vcc, 0, v[0:1]
	v_cndmask_b32_e32 v1, v1, v10, vcc
	v_cndmask_b32_e32 v0, v0, v3, vcc
	v_and_b32_e32 v3, v1, v5
	v_and_b32_e32 v4, v0, v4
	v_mul_lo_u32 v3, v3, 24
	v_mul_hi_u32 v5, v4, 24
	v_mul_lo_u32 v4, v4, 24
	v_add_u32_e32 v3, v5, v3
	s_waitcnt vmcnt(0)
	v_add_co_u32_e32 v4, vcc, v8, v4
	v_addc_co_u32_e32 v5, vcc, v9, v3, vcc
	v_mov_b32_e32 v2, v6
	global_store_dwordx2 v[4:5], v[6:7], off
	v_mov_b32_e32 v3, v7
	buffer_wbl2
	s_waitcnt vmcnt(0)
	global_atomic_cmpswap_x2 v[2:3], v41, v[0:3], s[34:35] offset:24 glc
	s_waitcnt vmcnt(0)
	v_cmp_ne_u64_e32 vcc, v[2:3], v[6:7]
	s_and_b64 exec, exec, vcc
	s_cbranch_execz .LBB5_1649
; %bb.1647:                             ;   in Loop: Header=BB5_1597 Depth=1
	s_mov_b64 s[4:5], 0
.LBB5_1648:                             ;   Parent Loop BB5_1597 Depth=1
                                        ; =>  This Inner Loop Header: Depth=2
	s_sleep 1
	global_store_dwordx2 v[4:5], v[2:3], off
	buffer_wbl2
	s_waitcnt vmcnt(0)
	global_atomic_cmpswap_x2 v[6:7], v41, v[0:3], s[34:35] offset:24 glc
	s_waitcnt vmcnt(0)
	v_cmp_eq_u64_e32 vcc, v[6:7], v[2:3]
	s_or_b64 s[4:5], vcc, s[4:5]
	v_pk_mov_b32 v[2:3], v[6:7], v[6:7] op_sel:[0,1]
	s_andn2_b64 exec, exec, s[4:5]
	s_cbranch_execnz .LBB5_1648
.LBB5_1649:                             ;   in Loop: Header=BB5_1597 Depth=1
	s_or_b64 exec, exec, s[8:9]
	s_lshl_b64 s[4:5], s[50:51], 2
	s_add_u32 s4, s48, s4
	s_addc_u32 s5, s49, s5
	global_load_dword v38, v41, s[4:5]
	s_getpc_b64 s[4:5]
	s_add_u32 s4, s4, .str.5@rel32@lo+4
	s_addc_u32 s5, s5, .str.5@rel32@hi+12
	s_getpc_b64 s[6:7]
	s_add_u32 s6, s6, .str.4@rel32@lo+4
	s_addc_u32 s7, s7, .str.4@rel32@hi+12
	s_waitcnt vmcnt(0)
	v_readfirstlane_b32 s8, v38
	s_and_b32 s8, s8, 1
	s_cmp_eq_u32 s8, 0
	s_cselect_b32 s53, s5, s7
	s_cselect_b32 s52, s4, s6
	s_add_u32 s18, s26, 0x48
	s_addc_u32 s19, s27, 0
	s_mov_b64 s[8:9], s[18:19]
	s_getpc_b64 s[4:5]
	s_add_u32 s4, s4, __ockl_printf_begin@rel32@lo+4
	s_addc_u32 s5, s5, __ockl_printf_begin@rel32@hi+12
	s_swappc_b64 s[30:31], s[4:5]
	s_getpc_b64 s[4:5]
	s_add_u32 s4, s4, .str.9@rel32@lo+4
	s_addc_u32 s5, s5, .str.9@rel32@hi+12
	s_mov_b64 s[8:9], s[18:19]
	v_mov_b32_e32 v2, s4
	v_mov_b32_e32 v3, s5
	;; [unrolled: 1-line block ×5, first 2 shown]
	s_getpc_b64 s[6:7]
	s_add_u32 s6, s6, __ockl_printf_append_string_n@rel32@lo+4
	s_addc_u32 s7, s7, __ockl_printf_append_string_n@rel32@hi+12
	s_swappc_b64 s[30:31], s[6:7]
	s_cmp_eq_u64 s[52:53], 0
	s_mov_b64 s[4:5], 0
	s_cbranch_scc1 .LBB5_1596
; %bb.1650:                             ;   in Loop: Header=BB5_1597 Depth=1
	s_add_u32 s4, s52, -1
	s_addc_u32 s5, s53, -1
.LBB5_1651:                             ;   Parent Loop BB5_1597 Depth=1
                                        ; =>  This Inner Loop Header: Depth=2
	global_load_ubyte v2, v41, s[4:5] offset:1
	s_add_u32 s6, s4, 1
	s_addc_u32 s7, s5, 0
	s_mov_b64 s[4:5], s[6:7]
	s_waitcnt vmcnt(0)
	v_cmp_ne_u16_e32 vcc, 0, v2
	s_cbranch_vccnz .LBB5_1651
; %bb.1652:                             ;   in Loop: Header=BB5_1597 Depth=1
	s_sub_u32 s4, s6, s52
	s_subb_u32 s5, s7, s53
	s_add_u32 s4, s4, 1
	s_addc_u32 s5, s5, 0
	s_branch .LBB5_1596
.LBB5_1653:
	v_mov_b32_e32 v0, 0
	global_load_dword v33, v0, s[36:37]
.LBB5_1654:
	v_mov_b32_e32 v6, 0
	global_load_dword v40, v6, s[38:39]
	global_load_dword v39, v6, s[42:43]
	v_readfirstlane_b32 s4, v51
	v_cmp_eq_u32_e64 s[4:5], s4, v51
	v_pk_mov_b32 v[4:5], 0, 0
	s_and_saveexec_b64 s[6:7], s[4:5]
	s_cbranch_execz .LBB5_1660
; %bb.1655:
	global_load_dwordx2 v[2:3], v6, s[34:35] offset:24 glc
	s_waitcnt vmcnt(0)
	buffer_invl2
	buffer_wbinvl1_vol
	global_load_dwordx2 v[0:1], v6, s[34:35] offset:40
	global_load_dwordx2 v[4:5], v6, s[34:35]
	s_waitcnt vmcnt(1)
	v_and_b32_e32 v0, v0, v2
	v_and_b32_e32 v1, v1, v3
	v_mul_lo_u32 v1, v1, 24
	v_mul_hi_u32 v7, v0, 24
	v_mul_lo_u32 v0, v0, 24
	v_add_u32_e32 v1, v7, v1
	s_waitcnt vmcnt(0)
	v_add_co_u32_e32 v0, vcc, v4, v0
	v_addc_co_u32_e32 v1, vcc, v5, v1, vcc
	global_load_dwordx2 v[0:1], v[0:1], off glc
	s_waitcnt vmcnt(0)
	global_atomic_cmpswap_x2 v[4:5], v6, v[0:3], s[34:35] offset:24 glc
	s_waitcnt vmcnt(0)
	buffer_invl2
	buffer_wbinvl1_vol
	v_cmp_ne_u64_e32 vcc, v[4:5], v[2:3]
	s_and_saveexec_b64 s[8:9], vcc
	s_cbranch_execz .LBB5_1659
; %bb.1656:
	s_mov_b64 s[10:11], 0
	v_mov_b32_e32 v0, 0
.LBB5_1657:                             ; =>This Inner Loop Header: Depth=1
	s_sleep 1
	global_load_dwordx2 v[2:3], v0, s[34:35] offset:40
	global_load_dwordx2 v[8:9], v0, s[34:35]
	v_pk_mov_b32 v[10:11], v[4:5], v[4:5] op_sel:[0,1]
	s_waitcnt vmcnt(1)
	v_and_b32_e32 v2, v2, v10
	v_and_b32_e32 v1, v3, v11
	s_waitcnt vmcnt(0)
	v_mad_u64_u32 v[2:3], s[12:13], v2, 24, v[8:9]
	v_mov_b32_e32 v4, v3
	v_mad_u64_u32 v[4:5], s[12:13], v1, 24, v[4:5]
	v_mov_b32_e32 v3, v4
	global_load_dwordx2 v[8:9], v[2:3], off glc
	s_waitcnt vmcnt(0)
	global_atomic_cmpswap_x2 v[4:5], v0, v[8:11], s[34:35] offset:24 glc
	s_waitcnt vmcnt(0)
	buffer_invl2
	buffer_wbinvl1_vol
	v_cmp_eq_u64_e32 vcc, v[4:5], v[10:11]
	s_or_b64 s[10:11], vcc, s[10:11]
	s_andn2_b64 exec, exec, s[10:11]
	s_cbranch_execnz .LBB5_1657
; %bb.1658:
	s_or_b64 exec, exec, s[10:11]
.LBB5_1659:
	s_or_b64 exec, exec, s[8:9]
.LBB5_1660:
	s_or_b64 exec, exec, s[6:7]
	global_load_dwordx2 v[8:9], v6, s[34:35] offset:40
	global_load_dwordx4 v[0:3], v6, s[34:35]
	v_readfirstlane_b32 s6, v4
	v_readfirstlane_b32 s7, v5
	s_mov_b64 s[8:9], exec
	s_waitcnt vmcnt(1)
	v_readfirstlane_b32 s10, v8
	v_readfirstlane_b32 s11, v9
	s_and_b64 s[10:11], s[6:7], s[10:11]
	s_mul_i32 s12, s11, 24
	s_mul_hi_u32 s13, s10, 24
	s_mul_i32 s14, s10, 24
	s_add_i32 s12, s13, s12
	v_mov_b32_e32 v4, s12
	s_waitcnt vmcnt(0)
	v_add_co_u32_e32 v6, vcc, s14, v0
	v_addc_co_u32_e32 v7, vcc, v1, v4, vcc
	s_and_saveexec_b64 s[12:13], s[4:5]
	s_cbranch_execz .LBB5_1662
; %bb.1661:
	v_pk_mov_b32 v[8:9], s[8:9], s[8:9] op_sel:[0,1]
	v_mov_b32_e32 v10, 2
	v_mov_b32_e32 v11, 1
	global_store_dwordx4 v[6:7], v[8:11], off offset:8
.LBB5_1662:
	s_or_b64 exec, exec, s[12:13]
	s_lshl_b64 s[8:9], s[10:11], 12
	v_mov_b32_e32 v4, s9
	v_add_co_u32_e32 v10, vcc, s8, v2
	v_addc_co_u32_e32 v11, vcc, v3, v4, vcc
	s_mov_b32 s8, 0
	v_add_co_u32_e32 v8, vcc, v10, v50
	s_mov_b32 s10, s8
	s_mov_b32 s11, s8
	v_mov_b32_e32 v3, 0
	v_addc_co_u32_e32 v9, vcc, 0, v11, vcc
	v_readfirstlane_b32 s12, v10
	v_readfirstlane_b32 s13, v11
	s_mov_b32 s9, s8
	v_pk_mov_b32 v[12:13], s[10:11], s[10:11] op_sel:[0,1]
	v_mov_b32_e32 v2, 33
	v_mov_b32_e32 v4, v3
	;; [unrolled: 1-line block ×3, first 2 shown]
	v_pk_mov_b32 v[10:11], s[8:9], s[8:9] op_sel:[0,1]
	global_store_dwordx4 v50, v[2:5], s[12:13]
	global_store_dwordx4 v50, v[10:13], s[12:13] offset:16
	global_store_dwordx4 v50, v[10:13], s[12:13] offset:32
	;; [unrolled: 1-line block ×3, first 2 shown]
	s_and_saveexec_b64 s[8:9], s[4:5]
	s_cbranch_execz .LBB5_1670
; %bb.1663:
	global_load_dwordx2 v[12:13], v3, s[34:35] offset:32 glc
	global_load_dwordx2 v[4:5], v3, s[34:35] offset:40
	v_mov_b32_e32 v10, s6
	v_mov_b32_e32 v11, s7
	s_waitcnt vmcnt(0)
	v_readfirstlane_b32 s10, v4
	v_readfirstlane_b32 s11, v5
	s_and_b64 s[10:11], s[10:11], s[6:7]
	s_mul_i32 s11, s11, 24
	s_mul_hi_u32 s12, s10, 24
	s_mul_i32 s10, s10, 24
	s_add_i32 s11, s12, s11
	v_mov_b32_e32 v2, s11
	v_add_co_u32_e32 v4, vcc, s10, v0
	v_addc_co_u32_e32 v5, vcc, v1, v2, vcc
	global_store_dwordx2 v[4:5], v[12:13], off
	buffer_wbl2
	s_waitcnt vmcnt(0)
	global_atomic_cmpswap_x2 v[2:3], v3, v[10:13], s[34:35] offset:32 glc
	s_waitcnt vmcnt(0)
	v_cmp_ne_u64_e32 vcc, v[2:3], v[12:13]
	s_and_saveexec_b64 s[10:11], vcc
	s_cbranch_execz .LBB5_1666
; %bb.1664:
	s_mov_b64 s[12:13], 0
	v_mov_b32_e32 v10, 0
.LBB5_1665:                             ; =>This Inner Loop Header: Depth=1
	s_sleep 1
	global_store_dwordx2 v[4:5], v[2:3], off
	v_mov_b32_e32 v0, s6
	v_mov_b32_e32 v1, s7
	buffer_wbl2
	s_waitcnt vmcnt(0)
	global_atomic_cmpswap_x2 v[0:1], v10, v[0:3], s[34:35] offset:32 glc
	s_waitcnt vmcnt(0)
	v_cmp_eq_u64_e32 vcc, v[0:1], v[2:3]
	s_or_b64 s[12:13], vcc, s[12:13]
	v_pk_mov_b32 v[2:3], v[0:1], v[0:1] op_sel:[0,1]
	s_andn2_b64 exec, exec, s[12:13]
	s_cbranch_execnz .LBB5_1665
.LBB5_1666:
	s_or_b64 exec, exec, s[10:11]
	v_mov_b32_e32 v3, 0
	global_load_dwordx2 v[0:1], v3, s[34:35] offset:16
	s_mov_b64 s[10:11], exec
	v_mbcnt_lo_u32_b32 v2, s10, 0
	v_mbcnt_hi_u32_b32 v2, s11, v2
	v_cmp_eq_u32_e32 vcc, 0, v2
	s_and_saveexec_b64 s[12:13], vcc
	s_cbranch_execz .LBB5_1668
; %bb.1667:
	s_bcnt1_i32_b64 s10, s[10:11]
	v_mov_b32_e32 v2, s10
	buffer_wbl2
	s_waitcnt vmcnt(0)
	global_atomic_add_x2 v[0:1], v[2:3], off offset:8
.LBB5_1668:
	s_or_b64 exec, exec, s[12:13]
	s_waitcnt vmcnt(0)
	global_load_dwordx2 v[2:3], v[0:1], off offset:16
	s_waitcnt vmcnt(0)
	v_cmp_eq_u64_e32 vcc, 0, v[2:3]
	s_cbranch_vccnz .LBB5_1670
; %bb.1669:
	global_load_dword v0, v[0:1], off offset:24
	v_mov_b32_e32 v1, 0
	buffer_wbl2
	s_waitcnt vmcnt(0)
	global_store_dwordx2 v[2:3], v[0:1], off
	v_and_b32_e32 v0, 0xffffff, v0
	v_readfirstlane_b32 m0, v0
	s_sendmsg sendmsg(MSG_INTERRUPT)
.LBB5_1670:
	s_or_b64 exec, exec, s[8:9]
	s_branch .LBB5_1674
.LBB5_1671:                             ;   in Loop: Header=BB5_1674 Depth=1
	s_or_b64 exec, exec, s[8:9]
	v_readfirstlane_b32 s8, v0
	s_cmp_eq_u32 s8, 0
	s_cbranch_scc1 .LBB5_1673
; %bb.1672:                             ;   in Loop: Header=BB5_1674 Depth=1
	s_sleep 1
	s_cbranch_execnz .LBB5_1674
	s_branch .LBB5_1676
.LBB5_1673:
	s_branch .LBB5_1676
.LBB5_1674:                             ; =>This Inner Loop Header: Depth=1
	v_mov_b32_e32 v0, 1
	s_and_saveexec_b64 s[8:9], s[4:5]
	s_cbranch_execz .LBB5_1671
; %bb.1675:                             ;   in Loop: Header=BB5_1674 Depth=1
	global_load_dword v0, v[6:7], off offset:20 glc
	s_waitcnt vmcnt(0)
	buffer_invl2
	buffer_wbinvl1_vol
	v_and_b32_e32 v0, 1, v0
	s_branch .LBB5_1671
.LBB5_1676:
	global_load_dwordx2 v[0:1], v[8:9], off
	s_and_saveexec_b64 s[8:9], s[4:5]
	s_cbranch_execz .LBB5_1679
; %bb.1677:
	v_mov_b32_e32 v8, 0
	global_load_dwordx2 v[6:7], v8, s[34:35] offset:40
	global_load_dwordx2 v[10:11], v8, s[34:35] offset:24 glc
	global_load_dwordx2 v[12:13], v8, s[34:35]
	v_mov_b32_e32 v3, s7
	s_mov_b64 s[4:5], 0
	s_waitcnt vmcnt(2)
	v_add_co_u32_e32 v5, vcc, 1, v6
	v_addc_co_u32_e32 v9, vcc, 0, v7, vcc
	v_add_co_u32_e32 v2, vcc, s6, v5
	v_addc_co_u32_e32 v3, vcc, v9, v3, vcc
	v_cmp_eq_u64_e32 vcc, 0, v[2:3]
	v_cndmask_b32_e32 v3, v3, v9, vcc
	v_cndmask_b32_e32 v2, v2, v5, vcc
	v_and_b32_e32 v5, v3, v7
	v_and_b32_e32 v6, v2, v6
	v_mul_lo_u32 v5, v5, 24
	v_mul_hi_u32 v7, v6, 24
	v_mul_lo_u32 v6, v6, 24
	v_add_u32_e32 v5, v7, v5
	s_waitcnt vmcnt(0)
	v_add_co_u32_e32 v6, vcc, v12, v6
	v_addc_co_u32_e32 v7, vcc, v13, v5, vcc
	v_mov_b32_e32 v4, v10
	global_store_dwordx2 v[6:7], v[10:11], off
	v_mov_b32_e32 v5, v11
	buffer_wbl2
	s_waitcnt vmcnt(0)
	global_atomic_cmpswap_x2 v[4:5], v8, v[2:5], s[34:35] offset:24 glc
	s_waitcnt vmcnt(0)
	v_cmp_ne_u64_e32 vcc, v[4:5], v[10:11]
	s_and_b64 exec, exec, vcc
	s_cbranch_execz .LBB5_1679
.LBB5_1678:                             ; =>This Inner Loop Header: Depth=1
	s_sleep 1
	global_store_dwordx2 v[6:7], v[4:5], off
	buffer_wbl2
	s_waitcnt vmcnt(0)
	global_atomic_cmpswap_x2 v[10:11], v8, v[2:5], s[34:35] offset:24 glc
	s_waitcnt vmcnt(0)
	v_cmp_eq_u64_e32 vcc, v[10:11], v[4:5]
	s_or_b64 s[4:5], vcc, s[4:5]
	v_pk_mov_b32 v[4:5], v[10:11], v[10:11] op_sel:[0,1]
	s_andn2_b64 exec, exec, s[4:5]
	s_cbranch_execnz .LBB5_1678
.LBB5_1679:
	s_or_b64 exec, exec, s[8:9]
	s_getpc_b64 s[4:5]
	s_add_u32 s4, s4, .str.10@rel32@lo+4
	s_addc_u32 s5, s5, .str.10@rel32@hi+12
	s_cmp_lg_u64 s[4:5], 0
	s_cselect_b32 s10, 42, 0
	s_add_u32 s26, s26, 0x48
	s_addc_u32 s27, s27, 0
	s_mov_b64 s[8:9], s[26:27]
	v_mov_b32_e32 v2, s4
	v_mov_b32_e32 v3, s5
	;; [unrolled: 1-line block ×5, first 2 shown]
	s_getpc_b64 s[6:7]
	s_add_u32 s6, s6, __ockl_printf_append_string_n@rel32@lo+4
	s_addc_u32 s7, s7, __ockl_printf_append_string_n@rel32@hi+12
	s_swappc_b64 s[30:31], s[6:7]
	s_mov_b64 s[8:9], s[26:27]
	v_mov_b32_e32 v2, v33
	v_mov_b32_e32 v3, 0
	;; [unrolled: 1-line block ×3, first 2 shown]
	s_getpc_b64 s[18:19]
	s_add_u32 s18, s18, __ockl_printf_append_args@rel32@lo+4
	s_addc_u32 s19, s19, __ockl_printf_append_args@rel32@hi+12
	s_swappc_b64 s[30:31], s[18:19]
	s_mov_b64 s[8:9], s[26:27]
	v_mov_b32_e32 v2, v40
	v_mov_b32_e32 v3, 0
	v_mov_b32_e32 v4, 0
	s_swappc_b64 s[30:31], s[18:19]
	s_mov_b64 s[8:9], s[26:27]
	v_mov_b32_e32 v2, v38
	v_mov_b32_e32 v3, 0
	v_mov_b32_e32 v4, 0
	;; [unrolled: 5-line block ×3, first 2 shown]
	s_swappc_b64 s[30:31], s[18:19]
	s_endpgm
	.section	.rodata,"a",@progbits
	.p2align	6, 0x0
	.amdhsa_kernel _Z16showDeviceKernelPiS_S_S_S_S_S_S_S_
		.amdhsa_group_segment_fixed_size 0
		.amdhsa_private_segment_fixed_size 0
		.amdhsa_kernarg_size 328
		.amdhsa_user_sgpr_count 8
		.amdhsa_user_sgpr_private_segment_buffer 1
		.amdhsa_user_sgpr_dispatch_ptr 0
		.amdhsa_user_sgpr_queue_ptr 0
		.amdhsa_user_sgpr_kernarg_segment_ptr 1
		.amdhsa_user_sgpr_dispatch_id 0
		.amdhsa_user_sgpr_flat_scratch_init 1
		.amdhsa_user_sgpr_kernarg_preload_length 0
		.amdhsa_user_sgpr_kernarg_preload_offset 0
		.amdhsa_user_sgpr_private_segment_size 0
		.amdhsa_uses_dynamic_stack 0
		.amdhsa_system_sgpr_private_segment_wavefront_offset 0
		.amdhsa_system_sgpr_workgroup_id_x 1
		.amdhsa_system_sgpr_workgroup_id_y 0
		.amdhsa_system_sgpr_workgroup_id_z 0
		.amdhsa_system_sgpr_workgroup_info 0
		.amdhsa_system_vgpr_workitem_id 0
		.amdhsa_next_free_vgpr 52
		.amdhsa_next_free_sgpr 63
		.amdhsa_accum_offset 52
		.amdhsa_reserve_vcc 1
		.amdhsa_reserve_flat_scratch 1
		.amdhsa_float_round_mode_32 0
		.amdhsa_float_round_mode_16_64 0
		.amdhsa_float_denorm_mode_32 3
		.amdhsa_float_denorm_mode_16_64 3
		.amdhsa_dx10_clamp 1
		.amdhsa_ieee_mode 1
		.amdhsa_fp16_overflow 0
		.amdhsa_tg_split 0
		.amdhsa_exception_fp_ieee_invalid_op 0
		.amdhsa_exception_fp_denorm_src 0
		.amdhsa_exception_fp_ieee_div_zero 0
		.amdhsa_exception_fp_ieee_overflow 0
		.amdhsa_exception_fp_ieee_underflow 0
		.amdhsa_exception_fp_ieee_inexact 0
		.amdhsa_exception_int_div_zero 0
	.end_amdhsa_kernel
	.text
.Lfunc_end5:
	.size	_Z16showDeviceKernelPiS_S_S_S_S_S_S_S_, .Lfunc_end5-_Z16showDeviceKernelPiS_S_S_S_S_S_S_S_
                                        ; -- End function
	.section	.AMDGPU.csdata,"",@progbits
; Kernel info:
; codeLenInByte = 59176
; NumSgprs: 69
; NumVgprs: 52
; NumAgprs: 0
; TotalNumVgprs: 52
; ScratchSize: 0
; MemoryBound: 0
; FloatMode: 240
; IeeeMode: 1
; LDSByteSize: 0 bytes/workgroup (compile time only)
; SGPRBlocks: 8
; VGPRBlocks: 6
; NumSGPRsForWavesPerEU: 69
; NumVGPRsForWavesPerEU: 52
; AccumOffset: 52
; Occupancy: 8
; WaveLimiterHint : 1
; COMPUTE_PGM_RSRC2:SCRATCH_EN: 0
; COMPUTE_PGM_RSRC2:USER_SGPR: 8
; COMPUTE_PGM_RSRC2:TRAP_HANDLER: 0
; COMPUTE_PGM_RSRC2:TGID_X_EN: 1
; COMPUTE_PGM_RSRC2:TGID_Y_EN: 0
; COMPUTE_PGM_RSRC2:TGID_Z_EN: 0
; COMPUTE_PGM_RSRC2:TIDIG_COMP_CNT: 0
; COMPUTE_PGM_RSRC3_GFX90A:ACCUM_OFFSET: 12
; COMPUTE_PGM_RSRC3_GFX90A:TG_SPLIT: 0
	.text
	.protected	_Z16printStatsKernelPKiS0_S0_ ; -- Begin function _Z16printStatsKernelPKiS0_S0_
	.globl	_Z16printStatsKernelPKiS0_S0_
	.p2align	8
	.type	_Z16printStatsKernelPKiS0_S0_,@function
_Z16printStatsKernelPKiS0_S0_:          ; @_Z16printStatsKernelPKiS0_S0_
; %bb.0:
	s_load_dwordx4 s[8:11], s[4:5], 0x0
	s_load_dwordx2 s[0:1], s[4:5], 0x10
	s_load_dwordx2 s[2:3], s[4:5], 0x68
	v_mbcnt_lo_u32_b32 v0, -1, 0
	v_mbcnt_hi_u32_b32 v34, -1, v0
	v_pk_mov_b32 v[6:7], 0, 0
	s_waitcnt lgkmcnt(0)
	s_load_dword s20, s[8:9], 0x0
	s_load_dword s19, s[10:11], 0x0
	;; [unrolled: 1-line block ×3, first 2 shown]
	v_readfirstlane_b32 s0, v34
	v_cmp_eq_u32_e64 s[0:1], s0, v34
	s_and_saveexec_b64 s[4:5], s[0:1]
	s_cbranch_execz .LBB6_6
; %bb.1:
	v_mov_b32_e32 v0, 0
	global_load_dwordx2 v[4:5], v0, s[2:3] offset:24 glc
	s_waitcnt vmcnt(0)
	buffer_invl2
	buffer_wbinvl1_vol
	global_load_dwordx2 v[2:3], v0, s[2:3] offset:40
	global_load_dwordx2 v[6:7], v0, s[2:3]
	s_waitcnt vmcnt(1)
	v_and_b32_e32 v1, v2, v4
	v_and_b32_e32 v2, v3, v5
	v_mul_lo_u32 v2, v2, 24
	v_mul_hi_u32 v3, v1, 24
	v_mul_lo_u32 v1, v1, 24
	v_add_u32_e32 v3, v3, v2
	s_waitcnt vmcnt(0)
	v_add_co_u32_e32 v2, vcc, v6, v1
	v_addc_co_u32_e32 v3, vcc, v7, v3, vcc
	global_load_dwordx2 v[2:3], v[2:3], off glc
	s_waitcnt vmcnt(0)
	global_atomic_cmpswap_x2 v[6:7], v0, v[2:5], s[2:3] offset:24 glc
	s_waitcnt vmcnt(0)
	buffer_invl2
	buffer_wbinvl1_vol
	v_cmp_ne_u64_e32 vcc, v[6:7], v[4:5]
	s_and_saveexec_b64 s[6:7], vcc
	s_cbranch_execz .LBB6_5
; %bb.2:
	s_mov_b64 s[8:9], 0
.LBB6_3:                                ; =>This Inner Loop Header: Depth=1
	s_sleep 1
	global_load_dwordx2 v[2:3], v0, s[2:3] offset:40
	global_load_dwordx2 v[8:9], v0, s[2:3]
	v_pk_mov_b32 v[4:5], v[6:7], v[6:7] op_sel:[0,1]
	s_waitcnt vmcnt(1)
	v_and_b32_e32 v2, v2, v4
	v_and_b32_e32 v1, v3, v5
	s_waitcnt vmcnt(0)
	v_mad_u64_u32 v[2:3], s[10:11], v2, 24, v[8:9]
	v_mov_b32_e32 v6, v3
	v_mad_u64_u32 v[6:7], s[10:11], v1, 24, v[6:7]
	v_mov_b32_e32 v3, v6
	global_load_dwordx2 v[2:3], v[2:3], off glc
	s_waitcnt vmcnt(0)
	global_atomic_cmpswap_x2 v[6:7], v0, v[2:5], s[2:3] offset:24 glc
	s_waitcnt vmcnt(0)
	buffer_invl2
	buffer_wbinvl1_vol
	v_cmp_eq_u64_e32 vcc, v[6:7], v[4:5]
	s_or_b64 s[8:9], vcc, s[8:9]
	s_andn2_b64 exec, exec, s[8:9]
	s_cbranch_execnz .LBB6_3
; %bb.4:
	s_or_b64 exec, exec, s[8:9]
.LBB6_5:
	s_or_b64 exec, exec, s[6:7]
.LBB6_6:
	s_or_b64 exec, exec, s[4:5]
	v_mov_b32_e32 v5, 0
	global_load_dwordx2 v[8:9], v5, s[2:3] offset:40
	global_load_dwordx4 v[0:3], v5, s[2:3]
	v_readfirstlane_b32 s4, v6
	v_readfirstlane_b32 s5, v7
	s_mov_b64 s[6:7], exec
	s_waitcnt vmcnt(1)
	v_readfirstlane_b32 s8, v8
	v_readfirstlane_b32 s9, v9
	s_and_b64 s[8:9], s[4:5], s[8:9]
	s_mul_i32 s10, s9, 24
	s_mul_hi_u32 s11, s8, 24
	s_mul_i32 s12, s8, 24
	s_add_i32 s10, s11, s10
	v_mov_b32_e32 v4, s10
	s_waitcnt vmcnt(0)
	v_add_co_u32_e32 v8, vcc, s12, v0
	v_addc_co_u32_e32 v9, vcc, v1, v4, vcc
	s_and_saveexec_b64 s[10:11], s[0:1]
	s_cbranch_execz .LBB6_8
; %bb.7:
	v_pk_mov_b32 v[10:11], s[6:7], s[6:7] op_sel:[0,1]
	v_mov_b32_e32 v12, 2
	v_mov_b32_e32 v13, 1
	global_store_dwordx4 v[8:9], v[10:13], off offset:8
.LBB6_8:
	s_or_b64 exec, exec, s[10:11]
	s_lshl_b64 s[6:7], s[8:9], 12
	v_mov_b32_e32 v4, s7
	v_add_co_u32_e32 v2, vcc, s6, v2
	v_addc_co_u32_e32 v3, vcc, v3, v4, vcc
	s_mov_b32 s8, 0
	v_lshlrev_b32_e32 v29, 6, v34
	v_add_co_u32_e32 v10, vcc, v2, v29
	v_mov_b32_e32 v4, 33
	v_mov_b32_e32 v6, v5
	;; [unrolled: 1-line block ×3, first 2 shown]
	v_readfirstlane_b32 s6, v2
	v_readfirstlane_b32 s7, v3
	s_mov_b32 s9, s8
	v_addc_co_u32_e32 v11, vcc, 0, v3, vcc
	s_mov_b32 s10, s8
	s_mov_b32 s11, s8
	s_nop 0
	global_store_dwordx4 v29, v[4:7], s[6:7]
	v_pk_mov_b32 v[2:3], s[8:9], s[8:9] op_sel:[0,1]
	v_pk_mov_b32 v[4:5], s[10:11], s[10:11] op_sel:[0,1]
	global_store_dwordx4 v29, v[2:5], s[6:7] offset:16
	global_store_dwordx4 v29, v[2:5], s[6:7] offset:32
	global_store_dwordx4 v29, v[2:5], s[6:7] offset:48
	s_and_saveexec_b64 s[6:7], s[0:1]
	s_cbranch_execz .LBB6_16
; %bb.9:
	v_mov_b32_e32 v6, 0
	global_load_dwordx2 v[14:15], v6, s[2:3] offset:32 glc
	global_load_dwordx2 v[2:3], v6, s[2:3] offset:40
	v_mov_b32_e32 v12, s4
	v_mov_b32_e32 v13, s5
	s_waitcnt vmcnt(0)
	v_and_b32_e32 v2, s4, v2
	v_and_b32_e32 v3, s5, v3
	v_mul_lo_u32 v3, v3, 24
	v_mul_hi_u32 v4, v2, 24
	v_mul_lo_u32 v2, v2, 24
	v_add_u32_e32 v3, v4, v3
	v_add_co_u32_e32 v4, vcc, v0, v2
	v_addc_co_u32_e32 v5, vcc, v1, v3, vcc
	global_store_dwordx2 v[4:5], v[14:15], off
	buffer_wbl2
	s_waitcnt vmcnt(0)
	global_atomic_cmpswap_x2 v[2:3], v6, v[12:15], s[2:3] offset:32 glc
	s_waitcnt vmcnt(0)
	v_cmp_ne_u64_e32 vcc, v[2:3], v[14:15]
	s_and_saveexec_b64 s[8:9], vcc
	s_cbranch_execz .LBB6_12
; %bb.10:
	s_mov_b64 s[10:11], 0
.LBB6_11:                               ; =>This Inner Loop Header: Depth=1
	s_sleep 1
	global_store_dwordx2 v[4:5], v[2:3], off
	v_mov_b32_e32 v0, s4
	v_mov_b32_e32 v1, s5
	buffer_wbl2
	s_waitcnt vmcnt(0)
	global_atomic_cmpswap_x2 v[0:1], v6, v[0:3], s[2:3] offset:32 glc
	s_waitcnt vmcnt(0)
	v_cmp_eq_u64_e32 vcc, v[0:1], v[2:3]
	s_or_b64 s[10:11], vcc, s[10:11]
	v_pk_mov_b32 v[2:3], v[0:1], v[0:1] op_sel:[0,1]
	s_andn2_b64 exec, exec, s[10:11]
	s_cbranch_execnz .LBB6_11
.LBB6_12:
	s_or_b64 exec, exec, s[8:9]
	v_mov_b32_e32 v3, 0
	global_load_dwordx2 v[0:1], v3, s[2:3] offset:16
	s_mov_b64 s[8:9], exec
	v_mbcnt_lo_u32_b32 v2, s8, 0
	v_mbcnt_hi_u32_b32 v2, s9, v2
	v_cmp_eq_u32_e32 vcc, 0, v2
	s_and_saveexec_b64 s[10:11], vcc
	s_cbranch_execz .LBB6_14
; %bb.13:
	s_bcnt1_i32_b64 s8, s[8:9]
	v_mov_b32_e32 v2, s8
	buffer_wbl2
	s_waitcnt vmcnt(0)
	global_atomic_add_x2 v[0:1], v[2:3], off offset:8
.LBB6_14:
	s_or_b64 exec, exec, s[10:11]
	s_waitcnt vmcnt(0)
	global_load_dwordx2 v[2:3], v[0:1], off offset:16
	s_waitcnt vmcnt(0)
	v_cmp_eq_u64_e32 vcc, 0, v[2:3]
	s_cbranch_vccnz .LBB6_16
; %bb.15:
	global_load_dword v0, v[0:1], off offset:24
	v_mov_b32_e32 v1, 0
	buffer_wbl2
	s_waitcnt vmcnt(0)
	global_store_dwordx2 v[2:3], v[0:1], off
	v_and_b32_e32 v0, 0xffffff, v0
	v_readfirstlane_b32 m0, v0
	s_sendmsg sendmsg(MSG_INTERRUPT)
.LBB6_16:
	s_or_b64 exec, exec, s[6:7]
	s_branch .LBB6_20
.LBB6_17:                               ;   in Loop: Header=BB6_20 Depth=1
	s_or_b64 exec, exec, s[6:7]
	v_readfirstlane_b32 s6, v0
	s_cmp_eq_u32 s6, 0
	s_cbranch_scc1 .LBB6_19
; %bb.18:                               ;   in Loop: Header=BB6_20 Depth=1
	s_sleep 1
	s_cbranch_execnz .LBB6_20
	s_branch .LBB6_22
.LBB6_19:
	s_branch .LBB6_22
.LBB6_20:                               ; =>This Inner Loop Header: Depth=1
	v_mov_b32_e32 v0, 1
	s_and_saveexec_b64 s[6:7], s[0:1]
	s_cbranch_execz .LBB6_17
; %bb.21:                               ;   in Loop: Header=BB6_20 Depth=1
	global_load_dword v0, v[8:9], off offset:20 glc
	s_waitcnt vmcnt(0)
	buffer_invl2
	buffer_wbinvl1_vol
	v_and_b32_e32 v0, 1, v0
	s_branch .LBB6_17
.LBB6_22:
	global_load_dwordx2 v[0:1], v[10:11], off
	s_and_saveexec_b64 s[6:7], s[0:1]
	s_cbranch_execz .LBB6_25
; %bb.23:
	v_mov_b32_e32 v8, 0
	global_load_dwordx2 v[6:7], v8, s[2:3] offset:40
	global_load_dwordx2 v[10:11], v8, s[2:3] offset:24 glc
	global_load_dwordx2 v[12:13], v8, s[2:3]
	v_mov_b32_e32 v3, s5
	s_mov_b64 s[0:1], 0
	s_waitcnt vmcnt(2)
	v_add_co_u32_e32 v5, vcc, 1, v6
	v_addc_co_u32_e32 v9, vcc, 0, v7, vcc
	v_add_co_u32_e32 v2, vcc, s4, v5
	v_addc_co_u32_e32 v3, vcc, v9, v3, vcc
	v_cmp_eq_u64_e32 vcc, 0, v[2:3]
	v_cndmask_b32_e32 v3, v3, v9, vcc
	v_cndmask_b32_e32 v2, v2, v5, vcc
	v_and_b32_e32 v5, v3, v7
	v_and_b32_e32 v6, v2, v6
	v_mul_lo_u32 v5, v5, 24
	v_mul_hi_u32 v7, v6, 24
	v_mul_lo_u32 v6, v6, 24
	v_add_u32_e32 v5, v7, v5
	s_waitcnt vmcnt(0)
	v_add_co_u32_e32 v6, vcc, v12, v6
	v_addc_co_u32_e32 v7, vcc, v13, v5, vcc
	v_mov_b32_e32 v4, v10
	global_store_dwordx2 v[6:7], v[10:11], off
	v_mov_b32_e32 v5, v11
	buffer_wbl2
	s_waitcnt vmcnt(0)
	global_atomic_cmpswap_x2 v[4:5], v8, v[2:5], s[2:3] offset:24 glc
	s_waitcnt vmcnt(0)
	v_cmp_ne_u64_e32 vcc, v[4:5], v[10:11]
	s_and_b64 exec, exec, vcc
	s_cbranch_execz .LBB6_25
.LBB6_24:                               ; =>This Inner Loop Header: Depth=1
	s_sleep 1
	global_store_dwordx2 v[6:7], v[4:5], off
	buffer_wbl2
	s_waitcnt vmcnt(0)
	global_atomic_cmpswap_x2 v[10:11], v8, v[2:5], s[2:3] offset:24 glc
	s_waitcnt vmcnt(0)
	v_cmp_eq_u64_e32 vcc, v[10:11], v[4:5]
	s_or_b64 s[0:1], vcc, s[0:1]
	v_pk_mov_b32 v[4:5], v[10:11], v[10:11] op_sel:[0,1]
	s_andn2_b64 exec, exec, s[0:1]
	s_cbranch_execnz .LBB6_24
.LBB6_25:
	s_or_b64 exec, exec, s[6:7]
	s_getpc_b64 s[4:5]
	s_add_u32 s4, s4, .str.11@rel32@lo+4
	s_addc_u32 s5, s5, .str.11@rel32@hi+12
	s_cmp_lg_u64 s[4:5], 0
	s_cbranch_scc0 .LBB6_110
; %bb.26:
	s_waitcnt vmcnt(0)
	v_and_b32_e32 v28, 2, v0
	v_mov_b32_e32 v31, 0
	v_and_b32_e32 v2, -3, v0
	v_mov_b32_e32 v3, v1
	s_mov_b64 s[6:7], 32
	v_mov_b32_e32 v6, 2
	v_mov_b32_e32 v7, 1
	s_branch .LBB6_28
.LBB6_27:                               ;   in Loop: Header=BB6_28 Depth=1
	s_or_b64 exec, exec, s[12:13]
	s_sub_u32 s6, s6, s8
	s_subb_u32 s7, s7, s9
	s_add_u32 s4, s4, s8
	s_addc_u32 s5, s5, s9
	s_cmp_lg_u64 s[6:7], 0
	s_cbranch_scc0 .LBB6_109
.LBB6_28:                               ; =>This Loop Header: Depth=1
                                        ;     Child Loop BB6_31 Depth 2
                                        ;     Child Loop BB6_38 Depth 2
	;; [unrolled: 1-line block ×11, first 2 shown]
	v_cmp_lt_u64_e64 s[0:1], s[6:7], 56
	s_and_b64 s[0:1], s[0:1], exec
	v_cmp_gt_u64_e64 s[0:1], s[6:7], 7
	s_cselect_b32 s9, s7, 0
	s_cselect_b32 s8, s6, 56
	s_and_b64 vcc, exec, s[0:1]
	s_cbranch_vccnz .LBB6_33
; %bb.29:                               ;   in Loop: Header=BB6_28 Depth=1
	s_mov_b64 s[0:1], 0
	s_cmp_eq_u64 s[6:7], 0
	v_pk_mov_b32 v[10:11], 0, 0
	s_cbranch_scc1 .LBB6_32
; %bb.30:                               ;   in Loop: Header=BB6_28 Depth=1
	s_lshl_b64 s[10:11], s[8:9], 3
	s_mov_b64 s[12:13], 0
	v_pk_mov_b32 v[10:11], 0, 0
	s_mov_b64 s[14:15], s[4:5]
.LBB6_31:                               ;   Parent Loop BB6_28 Depth=1
                                        ; =>  This Inner Loop Header: Depth=2
	global_load_ubyte v4, v31, s[14:15]
	s_waitcnt vmcnt(0)
	v_and_b32_e32 v30, 0xffff, v4
	v_lshlrev_b64 v[4:5], s12, v[30:31]
	s_add_u32 s12, s12, 8
	s_addc_u32 s13, s13, 0
	s_add_u32 s14, s14, 1
	s_addc_u32 s15, s15, 0
	v_or_b32_e32 v10, v4, v10
	s_cmp_lg_u32 s10, s12
	v_or_b32_e32 v11, v5, v11
	s_cbranch_scc1 .LBB6_31
.LBB6_32:                               ;   in Loop: Header=BB6_28 Depth=1
	s_mov_b32 s14, 0
	s_andn2_b64 vcc, exec, s[0:1]
	s_mov_b64 s[0:1], s[4:5]
	s_cbranch_vccz .LBB6_34
	s_branch .LBB6_35
.LBB6_33:                               ;   in Loop: Header=BB6_28 Depth=1
                                        ; implicit-def: $vgpr10_vgpr11
                                        ; implicit-def: $sgpr14
	s_mov_b64 s[0:1], s[4:5]
.LBB6_34:                               ;   in Loop: Header=BB6_28 Depth=1
	global_load_dwordx2 v[10:11], v31, s[4:5]
	s_add_i32 s14, s8, -8
	s_add_u32 s0, s4, 8
	s_addc_u32 s1, s5, 0
.LBB6_35:                               ;   in Loop: Header=BB6_28 Depth=1
	s_cmp_gt_u32 s14, 7
	s_cbranch_scc1 .LBB6_39
; %bb.36:                               ;   in Loop: Header=BB6_28 Depth=1
	s_cmp_eq_u32 s14, 0
	s_cbranch_scc1 .LBB6_40
; %bb.37:                               ;   in Loop: Header=BB6_28 Depth=1
	s_mov_b64 s[10:11], 0
	v_pk_mov_b32 v[12:13], 0, 0
	s_mov_b64 s[12:13], 0
.LBB6_38:                               ;   Parent Loop BB6_28 Depth=1
                                        ; =>  This Inner Loop Header: Depth=2
	s_add_u32 s16, s0, s12
	s_addc_u32 s17, s1, s13
	global_load_ubyte v4, v31, s[16:17]
	s_add_u32 s12, s12, 1
	s_addc_u32 s13, s13, 0
	s_waitcnt vmcnt(0)
	v_and_b32_e32 v30, 0xffff, v4
	v_lshlrev_b64 v[4:5], s10, v[30:31]
	s_add_u32 s10, s10, 8
	s_addc_u32 s11, s11, 0
	v_or_b32_e32 v12, v4, v12
	s_cmp_lg_u32 s14, s12
	v_or_b32_e32 v13, v5, v13
	s_cbranch_scc1 .LBB6_38
	s_branch .LBB6_41
.LBB6_39:                               ;   in Loop: Header=BB6_28 Depth=1
                                        ; implicit-def: $vgpr12_vgpr13
                                        ; implicit-def: $sgpr15
	s_branch .LBB6_42
.LBB6_40:                               ;   in Loop: Header=BB6_28 Depth=1
	v_pk_mov_b32 v[12:13], 0, 0
.LBB6_41:                               ;   in Loop: Header=BB6_28 Depth=1
	s_mov_b32 s15, 0
	s_cbranch_execnz .LBB6_43
.LBB6_42:                               ;   in Loop: Header=BB6_28 Depth=1
	global_load_dwordx2 v[12:13], v31, s[0:1]
	s_add_i32 s15, s14, -8
	s_add_u32 s0, s0, 8
	s_addc_u32 s1, s1, 0
.LBB6_43:                               ;   in Loop: Header=BB6_28 Depth=1
	s_cmp_gt_u32 s15, 7
	s_cbranch_scc1 .LBB6_47
; %bb.44:                               ;   in Loop: Header=BB6_28 Depth=1
	s_cmp_eq_u32 s15, 0
	s_cbranch_scc1 .LBB6_48
; %bb.45:                               ;   in Loop: Header=BB6_28 Depth=1
	s_mov_b64 s[10:11], 0
	v_pk_mov_b32 v[14:15], 0, 0
	s_mov_b64 s[12:13], 0
.LBB6_46:                               ;   Parent Loop BB6_28 Depth=1
                                        ; =>  This Inner Loop Header: Depth=2
	s_add_u32 s16, s0, s12
	s_addc_u32 s17, s1, s13
	global_load_ubyte v4, v31, s[16:17]
	s_add_u32 s12, s12, 1
	s_addc_u32 s13, s13, 0
	s_waitcnt vmcnt(0)
	v_and_b32_e32 v30, 0xffff, v4
	v_lshlrev_b64 v[4:5], s10, v[30:31]
	s_add_u32 s10, s10, 8
	s_addc_u32 s11, s11, 0
	v_or_b32_e32 v14, v4, v14
	s_cmp_lg_u32 s15, s12
	v_or_b32_e32 v15, v5, v15
	s_cbranch_scc1 .LBB6_46
	s_branch .LBB6_49
.LBB6_47:                               ;   in Loop: Header=BB6_28 Depth=1
                                        ; implicit-def: $sgpr14
	s_branch .LBB6_50
.LBB6_48:                               ;   in Loop: Header=BB6_28 Depth=1
	v_pk_mov_b32 v[14:15], 0, 0
.LBB6_49:                               ;   in Loop: Header=BB6_28 Depth=1
	s_mov_b32 s14, 0
	s_cbranch_execnz .LBB6_51
.LBB6_50:                               ;   in Loop: Header=BB6_28 Depth=1
	global_load_dwordx2 v[14:15], v31, s[0:1]
	s_add_i32 s14, s15, -8
	s_add_u32 s0, s0, 8
	s_addc_u32 s1, s1, 0
.LBB6_51:                               ;   in Loop: Header=BB6_28 Depth=1
	s_cmp_gt_u32 s14, 7
	s_cbranch_scc1 .LBB6_55
; %bb.52:                               ;   in Loop: Header=BB6_28 Depth=1
	s_cmp_eq_u32 s14, 0
	s_cbranch_scc1 .LBB6_56
; %bb.53:                               ;   in Loop: Header=BB6_28 Depth=1
	s_mov_b64 s[10:11], 0
	v_pk_mov_b32 v[16:17], 0, 0
	s_mov_b64 s[12:13], 0
.LBB6_54:                               ;   Parent Loop BB6_28 Depth=1
                                        ; =>  This Inner Loop Header: Depth=2
	s_add_u32 s16, s0, s12
	s_addc_u32 s17, s1, s13
	global_load_ubyte v4, v31, s[16:17]
	s_add_u32 s12, s12, 1
	s_addc_u32 s13, s13, 0
	s_waitcnt vmcnt(0)
	v_and_b32_e32 v30, 0xffff, v4
	v_lshlrev_b64 v[4:5], s10, v[30:31]
	s_add_u32 s10, s10, 8
	s_addc_u32 s11, s11, 0
	v_or_b32_e32 v16, v4, v16
	s_cmp_lg_u32 s14, s12
	v_or_b32_e32 v17, v5, v17
	s_cbranch_scc1 .LBB6_54
	s_branch .LBB6_57
.LBB6_55:                               ;   in Loop: Header=BB6_28 Depth=1
                                        ; implicit-def: $vgpr16_vgpr17
                                        ; implicit-def: $sgpr15
	s_branch .LBB6_58
.LBB6_56:                               ;   in Loop: Header=BB6_28 Depth=1
	v_pk_mov_b32 v[16:17], 0, 0
.LBB6_57:                               ;   in Loop: Header=BB6_28 Depth=1
	s_mov_b32 s15, 0
	s_cbranch_execnz .LBB6_59
.LBB6_58:                               ;   in Loop: Header=BB6_28 Depth=1
	global_load_dwordx2 v[16:17], v31, s[0:1]
	s_add_i32 s15, s14, -8
	s_add_u32 s0, s0, 8
	s_addc_u32 s1, s1, 0
.LBB6_59:                               ;   in Loop: Header=BB6_28 Depth=1
	s_cmp_gt_u32 s15, 7
	s_cbranch_scc1 .LBB6_63
; %bb.60:                               ;   in Loop: Header=BB6_28 Depth=1
	s_cmp_eq_u32 s15, 0
	s_cbranch_scc1 .LBB6_64
; %bb.61:                               ;   in Loop: Header=BB6_28 Depth=1
	s_mov_b64 s[10:11], 0
	v_pk_mov_b32 v[18:19], 0, 0
	s_mov_b64 s[12:13], 0
.LBB6_62:                               ;   Parent Loop BB6_28 Depth=1
                                        ; =>  This Inner Loop Header: Depth=2
	s_add_u32 s16, s0, s12
	s_addc_u32 s17, s1, s13
	global_load_ubyte v4, v31, s[16:17]
	s_add_u32 s12, s12, 1
	s_addc_u32 s13, s13, 0
	s_waitcnt vmcnt(0)
	v_and_b32_e32 v30, 0xffff, v4
	v_lshlrev_b64 v[4:5], s10, v[30:31]
	s_add_u32 s10, s10, 8
	s_addc_u32 s11, s11, 0
	v_or_b32_e32 v18, v4, v18
	s_cmp_lg_u32 s15, s12
	v_or_b32_e32 v19, v5, v19
	s_cbranch_scc1 .LBB6_62
	s_branch .LBB6_65
.LBB6_63:                               ;   in Loop: Header=BB6_28 Depth=1
                                        ; implicit-def: $sgpr14
	s_branch .LBB6_66
.LBB6_64:                               ;   in Loop: Header=BB6_28 Depth=1
	v_pk_mov_b32 v[18:19], 0, 0
.LBB6_65:                               ;   in Loop: Header=BB6_28 Depth=1
	s_mov_b32 s14, 0
	s_cbranch_execnz .LBB6_67
.LBB6_66:                               ;   in Loop: Header=BB6_28 Depth=1
	global_load_dwordx2 v[18:19], v31, s[0:1]
	s_add_i32 s14, s15, -8
	s_add_u32 s0, s0, 8
	s_addc_u32 s1, s1, 0
.LBB6_67:                               ;   in Loop: Header=BB6_28 Depth=1
	s_cmp_gt_u32 s14, 7
	s_cbranch_scc1 .LBB6_71
; %bb.68:                               ;   in Loop: Header=BB6_28 Depth=1
	s_cmp_eq_u32 s14, 0
	s_cbranch_scc1 .LBB6_72
; %bb.69:                               ;   in Loop: Header=BB6_28 Depth=1
	s_mov_b64 s[10:11], 0
	v_pk_mov_b32 v[20:21], 0, 0
	s_mov_b64 s[12:13], 0
.LBB6_70:                               ;   Parent Loop BB6_28 Depth=1
                                        ; =>  This Inner Loop Header: Depth=2
	s_add_u32 s16, s0, s12
	s_addc_u32 s17, s1, s13
	global_load_ubyte v4, v31, s[16:17]
	s_add_u32 s12, s12, 1
	s_addc_u32 s13, s13, 0
	s_waitcnt vmcnt(0)
	v_and_b32_e32 v30, 0xffff, v4
	v_lshlrev_b64 v[4:5], s10, v[30:31]
	s_add_u32 s10, s10, 8
	s_addc_u32 s11, s11, 0
	v_or_b32_e32 v20, v4, v20
	s_cmp_lg_u32 s14, s12
	v_or_b32_e32 v21, v5, v21
	s_cbranch_scc1 .LBB6_70
	s_branch .LBB6_73
.LBB6_71:                               ;   in Loop: Header=BB6_28 Depth=1
                                        ; implicit-def: $vgpr20_vgpr21
                                        ; implicit-def: $sgpr15
	s_branch .LBB6_74
.LBB6_72:                               ;   in Loop: Header=BB6_28 Depth=1
	v_pk_mov_b32 v[20:21], 0, 0
.LBB6_73:                               ;   in Loop: Header=BB6_28 Depth=1
	s_mov_b32 s15, 0
	s_cbranch_execnz .LBB6_75
.LBB6_74:                               ;   in Loop: Header=BB6_28 Depth=1
	global_load_dwordx2 v[20:21], v31, s[0:1]
	s_add_i32 s15, s14, -8
	s_add_u32 s0, s0, 8
	s_addc_u32 s1, s1, 0
.LBB6_75:                               ;   in Loop: Header=BB6_28 Depth=1
	s_cmp_gt_u32 s15, 7
	s_cbranch_scc1 .LBB6_79
; %bb.76:                               ;   in Loop: Header=BB6_28 Depth=1
	s_cmp_eq_u32 s15, 0
	s_cbranch_scc1 .LBB6_80
; %bb.77:                               ;   in Loop: Header=BB6_28 Depth=1
	s_mov_b64 s[10:11], 0
	v_pk_mov_b32 v[22:23], 0, 0
	s_mov_b64 s[12:13], s[0:1]
.LBB6_78:                               ;   Parent Loop BB6_28 Depth=1
                                        ; =>  This Inner Loop Header: Depth=2
	global_load_ubyte v4, v31, s[12:13]
	s_add_i32 s15, s15, -1
	s_waitcnt vmcnt(0)
	v_and_b32_e32 v30, 0xffff, v4
	v_lshlrev_b64 v[4:5], s10, v[30:31]
	s_add_u32 s10, s10, 8
	s_addc_u32 s11, s11, 0
	s_add_u32 s12, s12, 1
	s_addc_u32 s13, s13, 0
	v_or_b32_e32 v22, v4, v22
	s_cmp_lg_u32 s15, 0
	v_or_b32_e32 v23, v5, v23
	s_cbranch_scc1 .LBB6_78
	s_branch .LBB6_81
.LBB6_79:                               ;   in Loop: Header=BB6_28 Depth=1
	s_branch .LBB6_82
.LBB6_80:                               ;   in Loop: Header=BB6_28 Depth=1
	v_pk_mov_b32 v[22:23], 0, 0
.LBB6_81:                               ;   in Loop: Header=BB6_28 Depth=1
	s_cbranch_execnz .LBB6_83
.LBB6_82:                               ;   in Loop: Header=BB6_28 Depth=1
	global_load_dwordx2 v[22:23], v31, s[0:1]
.LBB6_83:                               ;   in Loop: Header=BB6_28 Depth=1
	v_readfirstlane_b32 s0, v34
	v_cmp_eq_u32_e64 s[0:1], s0, v34
	s_waitcnt vmcnt(0)
	v_pk_mov_b32 v[4:5], 0, 0
	s_and_saveexec_b64 s[10:11], s[0:1]
	s_cbranch_execz .LBB6_89
; %bb.84:                               ;   in Loop: Header=BB6_28 Depth=1
	global_load_dwordx2 v[26:27], v31, s[2:3] offset:24 glc
	s_waitcnt vmcnt(0)
	buffer_invl2
	buffer_wbinvl1_vol
	global_load_dwordx2 v[4:5], v31, s[2:3] offset:40
	global_load_dwordx2 v[8:9], v31, s[2:3]
	s_waitcnt vmcnt(1)
	v_and_b32_e32 v4, v4, v26
	v_and_b32_e32 v5, v5, v27
	v_mul_lo_u32 v5, v5, 24
	v_mul_hi_u32 v24, v4, 24
	v_mul_lo_u32 v4, v4, 24
	v_add_u32_e32 v5, v24, v5
	s_waitcnt vmcnt(0)
	v_add_co_u32_e32 v4, vcc, v8, v4
	v_addc_co_u32_e32 v5, vcc, v9, v5, vcc
	global_load_dwordx2 v[24:25], v[4:5], off glc
	s_waitcnt vmcnt(0)
	global_atomic_cmpswap_x2 v[4:5], v31, v[24:27], s[2:3] offset:24 glc
	s_waitcnt vmcnt(0)
	buffer_invl2
	buffer_wbinvl1_vol
	v_cmp_ne_u64_e32 vcc, v[4:5], v[26:27]
	s_and_saveexec_b64 s[12:13], vcc
	s_cbranch_execz .LBB6_88
; %bb.85:                               ;   in Loop: Header=BB6_28 Depth=1
	s_mov_b64 s[14:15], 0
.LBB6_86:                               ;   Parent Loop BB6_28 Depth=1
                                        ; =>  This Inner Loop Header: Depth=2
	s_sleep 1
	global_load_dwordx2 v[8:9], v31, s[2:3] offset:40
	global_load_dwordx2 v[24:25], v31, s[2:3]
	v_pk_mov_b32 v[26:27], v[4:5], v[4:5] op_sel:[0,1]
	s_waitcnt vmcnt(1)
	v_and_b32_e32 v4, v8, v26
	s_waitcnt vmcnt(0)
	v_mad_u64_u32 v[4:5], s[16:17], v4, 24, v[24:25]
	v_and_b32_e32 v9, v9, v27
	v_mov_b32_e32 v8, v5
	v_mad_u64_u32 v[8:9], s[16:17], v9, 24, v[8:9]
	v_mov_b32_e32 v5, v8
	global_load_dwordx2 v[24:25], v[4:5], off glc
	s_waitcnt vmcnt(0)
	global_atomic_cmpswap_x2 v[4:5], v31, v[24:27], s[2:3] offset:24 glc
	s_waitcnt vmcnt(0)
	buffer_invl2
	buffer_wbinvl1_vol
	v_cmp_eq_u64_e32 vcc, v[4:5], v[26:27]
	s_or_b64 s[14:15], vcc, s[14:15]
	s_andn2_b64 exec, exec, s[14:15]
	s_cbranch_execnz .LBB6_86
; %bb.87:                               ;   in Loop: Header=BB6_28 Depth=1
	s_or_b64 exec, exec, s[14:15]
.LBB6_88:                               ;   in Loop: Header=BB6_28 Depth=1
	s_or_b64 exec, exec, s[12:13]
.LBB6_89:                               ;   in Loop: Header=BB6_28 Depth=1
	s_or_b64 exec, exec, s[10:11]
	global_load_dwordx2 v[8:9], v31, s[2:3] offset:40
	global_load_dwordx4 v[24:27], v31, s[2:3]
	v_readfirstlane_b32 s10, v4
	v_readfirstlane_b32 s11, v5
	s_mov_b64 s[12:13], exec
	s_waitcnt vmcnt(1)
	v_readfirstlane_b32 s14, v8
	v_readfirstlane_b32 s15, v9
	s_and_b64 s[14:15], s[10:11], s[14:15]
	s_mul_i32 s16, s15, 24
	s_mul_hi_u32 s17, s14, 24
	s_mul_i32 s21, s14, 24
	s_add_i32 s16, s17, s16
	v_mov_b32_e32 v4, s16
	s_waitcnt vmcnt(0)
	v_add_co_u32_e32 v32, vcc, s21, v24
	v_addc_co_u32_e32 v33, vcc, v25, v4, vcc
	s_and_saveexec_b64 s[16:17], s[0:1]
	s_cbranch_execz .LBB6_91
; %bb.90:                               ;   in Loop: Header=BB6_28 Depth=1
	v_pk_mov_b32 v[4:5], s[12:13], s[12:13] op_sel:[0,1]
	global_store_dwordx4 v[32:33], v[4:7], off offset:8
.LBB6_91:                               ;   in Loop: Header=BB6_28 Depth=1
	s_or_b64 exec, exec, s[16:17]
	s_lshl_b64 s[12:13], s[14:15], 12
	v_mov_b32_e32 v4, s13
	v_add_co_u32_e32 v26, vcc, s12, v26
	v_addc_co_u32_e32 v27, vcc, v27, v4, vcc
	v_or_b32_e32 v5, v2, v28
	v_cmp_gt_u64_e64 vcc, s[6:7], 56
	s_lshl_b32 s12, s8, 2
	v_cndmask_b32_e32 v2, v5, v2, vcc
	s_add_i32 s12, s12, 28
	v_or_b32_e32 v4, 0, v3
	s_and_b32 s12, s12, 0x1e0
	v_and_b32_e32 v2, 0xffffff1f, v2
	v_cndmask_b32_e32 v9, v4, v3, vcc
	v_or_b32_e32 v8, s12, v2
	v_readfirstlane_b32 s12, v26
	v_readfirstlane_b32 s13, v27
	s_nop 4
	global_store_dwordx4 v29, v[8:11], s[12:13]
	global_store_dwordx4 v29, v[12:15], s[12:13] offset:16
	global_store_dwordx4 v29, v[16:19], s[12:13] offset:32
	;; [unrolled: 1-line block ×3, first 2 shown]
	s_and_saveexec_b64 s[12:13], s[0:1]
	s_cbranch_execz .LBB6_99
; %bb.92:                               ;   in Loop: Header=BB6_28 Depth=1
	global_load_dwordx2 v[12:13], v31, s[2:3] offset:32 glc
	global_load_dwordx2 v[2:3], v31, s[2:3] offset:40
	v_mov_b32_e32 v10, s10
	v_mov_b32_e32 v11, s11
	s_waitcnt vmcnt(0)
	v_readfirstlane_b32 s14, v2
	v_readfirstlane_b32 s15, v3
	s_and_b64 s[14:15], s[14:15], s[10:11]
	s_mul_i32 s15, s15, 24
	s_mul_hi_u32 s16, s14, 24
	s_mul_i32 s14, s14, 24
	s_add_i32 s15, s16, s15
	v_mov_b32_e32 v2, s15
	v_add_co_u32_e32 v8, vcc, s14, v24
	v_addc_co_u32_e32 v9, vcc, v25, v2, vcc
	global_store_dwordx2 v[8:9], v[12:13], off
	buffer_wbl2
	s_waitcnt vmcnt(0)
	global_atomic_cmpswap_x2 v[4:5], v31, v[10:13], s[2:3] offset:32 glc
	s_waitcnt vmcnt(0)
	v_cmp_ne_u64_e32 vcc, v[4:5], v[12:13]
	s_and_saveexec_b64 s[14:15], vcc
	s_cbranch_execz .LBB6_95
; %bb.93:                               ;   in Loop: Header=BB6_28 Depth=1
	s_mov_b64 s[16:17], 0
.LBB6_94:                               ;   Parent Loop BB6_28 Depth=1
                                        ; =>  This Inner Loop Header: Depth=2
	s_sleep 1
	global_store_dwordx2 v[8:9], v[4:5], off
	v_mov_b32_e32 v2, s10
	v_mov_b32_e32 v3, s11
	buffer_wbl2
	s_waitcnt vmcnt(0)
	global_atomic_cmpswap_x2 v[2:3], v31, v[2:5], s[2:3] offset:32 glc
	s_waitcnt vmcnt(0)
	v_cmp_eq_u64_e32 vcc, v[2:3], v[4:5]
	s_or_b64 s[16:17], vcc, s[16:17]
	v_pk_mov_b32 v[4:5], v[2:3], v[2:3] op_sel:[0,1]
	s_andn2_b64 exec, exec, s[16:17]
	s_cbranch_execnz .LBB6_94
.LBB6_95:                               ;   in Loop: Header=BB6_28 Depth=1
	s_or_b64 exec, exec, s[14:15]
	global_load_dwordx2 v[2:3], v31, s[2:3] offset:16
	s_mov_b64 s[16:17], exec
	v_mbcnt_lo_u32_b32 v4, s16, 0
	v_mbcnt_hi_u32_b32 v4, s17, v4
	v_cmp_eq_u32_e32 vcc, 0, v4
	s_and_saveexec_b64 s[14:15], vcc
	s_cbranch_execz .LBB6_97
; %bb.96:                               ;   in Loop: Header=BB6_28 Depth=1
	s_bcnt1_i32_b64 s16, s[16:17]
	v_mov_b32_e32 v30, s16
	buffer_wbl2
	s_waitcnt vmcnt(0)
	global_atomic_add_x2 v[2:3], v[30:31], off offset:8
.LBB6_97:                               ;   in Loop: Header=BB6_28 Depth=1
	s_or_b64 exec, exec, s[14:15]
	s_waitcnt vmcnt(0)
	global_load_dwordx2 v[4:5], v[2:3], off offset:16
	s_waitcnt vmcnt(0)
	v_cmp_eq_u64_e32 vcc, 0, v[4:5]
	s_cbranch_vccnz .LBB6_99
; %bb.98:                               ;   in Loop: Header=BB6_28 Depth=1
	global_load_dword v30, v[2:3], off offset:24
	s_waitcnt vmcnt(0)
	v_and_b32_e32 v2, 0xffffff, v30
	v_readfirstlane_b32 m0, v2
	buffer_wbl2
	global_store_dwordx2 v[4:5], v[30:31], off
	s_sendmsg sendmsg(MSG_INTERRUPT)
.LBB6_99:                               ;   in Loop: Header=BB6_28 Depth=1
	s_or_b64 exec, exec, s[12:13]
	v_add_co_u32_e32 v2, vcc, v26, v29
	v_addc_co_u32_e32 v3, vcc, 0, v27, vcc
	s_branch .LBB6_103
.LBB6_100:                              ;   in Loop: Header=BB6_103 Depth=2
	s_or_b64 exec, exec, s[12:13]
	v_readfirstlane_b32 s12, v4
	s_cmp_eq_u32 s12, 0
	s_cbranch_scc1 .LBB6_102
; %bb.101:                              ;   in Loop: Header=BB6_103 Depth=2
	s_sleep 1
	s_cbranch_execnz .LBB6_103
	s_branch .LBB6_105
.LBB6_102:                              ;   in Loop: Header=BB6_28 Depth=1
	s_branch .LBB6_105
.LBB6_103:                              ;   Parent Loop BB6_28 Depth=1
                                        ; =>  This Inner Loop Header: Depth=2
	v_mov_b32_e32 v4, 1
	s_and_saveexec_b64 s[12:13], s[0:1]
	s_cbranch_execz .LBB6_100
; %bb.104:                              ;   in Loop: Header=BB6_103 Depth=2
	global_load_dword v4, v[32:33], off offset:20 glc
	s_waitcnt vmcnt(0)
	buffer_invl2
	buffer_wbinvl1_vol
	v_and_b32_e32 v4, 1, v4
	s_branch .LBB6_100
.LBB6_105:                              ;   in Loop: Header=BB6_28 Depth=1
	global_load_dwordx4 v[2:5], v[2:3], off
	s_and_saveexec_b64 s[12:13], s[0:1]
	s_cbranch_execz .LBB6_27
; %bb.106:                              ;   in Loop: Header=BB6_28 Depth=1
	global_load_dwordx2 v[4:5], v31, s[2:3] offset:40
	global_load_dwordx2 v[12:13], v31, s[2:3] offset:24 glc
	global_load_dwordx2 v[14:15], v31, s[2:3]
	v_mov_b32_e32 v9, s11
	s_waitcnt vmcnt(2)
	v_add_co_u32_e32 v11, vcc, 1, v4
	v_addc_co_u32_e32 v16, vcc, 0, v5, vcc
	v_add_co_u32_e32 v8, vcc, s10, v11
	v_addc_co_u32_e32 v9, vcc, v16, v9, vcc
	v_cmp_eq_u64_e32 vcc, 0, v[8:9]
	v_cndmask_b32_e32 v9, v9, v16, vcc
	v_cndmask_b32_e32 v8, v8, v11, vcc
	v_and_b32_e32 v5, v9, v5
	v_and_b32_e32 v4, v8, v4
	v_mul_lo_u32 v5, v5, 24
	v_mul_hi_u32 v11, v4, 24
	v_mul_lo_u32 v4, v4, 24
	v_add_u32_e32 v5, v11, v5
	s_waitcnt vmcnt(0)
	v_add_co_u32_e32 v4, vcc, v14, v4
	v_addc_co_u32_e32 v5, vcc, v15, v5, vcc
	v_mov_b32_e32 v10, v12
	global_store_dwordx2 v[4:5], v[12:13], off
	v_mov_b32_e32 v11, v13
	buffer_wbl2
	s_waitcnt vmcnt(0)
	global_atomic_cmpswap_x2 v[10:11], v31, v[8:11], s[2:3] offset:24 glc
	s_waitcnt vmcnt(0)
	v_cmp_ne_u64_e32 vcc, v[10:11], v[12:13]
	s_and_b64 exec, exec, vcc
	s_cbranch_execz .LBB6_27
; %bb.107:                              ;   in Loop: Header=BB6_28 Depth=1
	s_mov_b64 s[0:1], 0
.LBB6_108:                              ;   Parent Loop BB6_28 Depth=1
                                        ; =>  This Inner Loop Header: Depth=2
	s_sleep 1
	global_store_dwordx2 v[4:5], v[10:11], off
	buffer_wbl2
	s_waitcnt vmcnt(0)
	global_atomic_cmpswap_x2 v[12:13], v31, v[8:11], s[2:3] offset:24 glc
	s_waitcnt vmcnt(0)
	v_cmp_eq_u64_e32 vcc, v[12:13], v[10:11]
	s_or_b64 s[0:1], vcc, s[0:1]
	v_pk_mov_b32 v[10:11], v[12:13], v[12:13] op_sel:[0,1]
	s_andn2_b64 exec, exec, s[0:1]
	s_cbranch_execnz .LBB6_108
	s_branch .LBB6_27
.LBB6_109:
	s_branch .LBB6_137
.LBB6_110:
                                        ; implicit-def: $vgpr2_vgpr3
	s_cbranch_execz .LBB6_137
; %bb.111:
	v_readfirstlane_b32 s0, v34
	v_cmp_eq_u32_e64 s[0:1], s0, v34
	v_pk_mov_b32 v[8:9], 0, 0
	s_and_saveexec_b64 s[4:5], s[0:1]
	s_cbranch_execz .LBB6_117
; %bb.112:
	s_waitcnt vmcnt(0)
	v_mov_b32_e32 v2, 0
	global_load_dwordx2 v[6:7], v2, s[2:3] offset:24 glc
	s_waitcnt vmcnt(0)
	buffer_invl2
	buffer_wbinvl1_vol
	global_load_dwordx2 v[4:5], v2, s[2:3] offset:40
	global_load_dwordx2 v[8:9], v2, s[2:3]
	s_waitcnt vmcnt(1)
	v_and_b32_e32 v3, v4, v6
	v_and_b32_e32 v4, v5, v7
	v_mul_lo_u32 v4, v4, 24
	v_mul_hi_u32 v5, v3, 24
	v_mul_lo_u32 v3, v3, 24
	v_add_u32_e32 v5, v5, v4
	s_waitcnt vmcnt(0)
	v_add_co_u32_e32 v4, vcc, v8, v3
	v_addc_co_u32_e32 v5, vcc, v9, v5, vcc
	global_load_dwordx2 v[4:5], v[4:5], off glc
	s_waitcnt vmcnt(0)
	global_atomic_cmpswap_x2 v[8:9], v2, v[4:7], s[2:3] offset:24 glc
	s_waitcnt vmcnt(0)
	buffer_invl2
	buffer_wbinvl1_vol
	v_cmp_ne_u64_e32 vcc, v[8:9], v[6:7]
	s_and_saveexec_b64 s[6:7], vcc
	s_cbranch_execz .LBB6_116
; %bb.113:
	s_mov_b64 s[8:9], 0
.LBB6_114:                              ; =>This Inner Loop Header: Depth=1
	s_sleep 1
	global_load_dwordx2 v[4:5], v2, s[2:3] offset:40
	global_load_dwordx2 v[10:11], v2, s[2:3]
	v_pk_mov_b32 v[6:7], v[8:9], v[8:9] op_sel:[0,1]
	s_waitcnt vmcnt(1)
	v_and_b32_e32 v4, v4, v6
	v_and_b32_e32 v3, v5, v7
	s_waitcnt vmcnt(0)
	v_mad_u64_u32 v[4:5], s[10:11], v4, 24, v[10:11]
	v_mov_b32_e32 v8, v5
	v_mad_u64_u32 v[8:9], s[10:11], v3, 24, v[8:9]
	v_mov_b32_e32 v5, v8
	global_load_dwordx2 v[4:5], v[4:5], off glc
	s_waitcnt vmcnt(0)
	global_atomic_cmpswap_x2 v[8:9], v2, v[4:7], s[2:3] offset:24 glc
	s_waitcnt vmcnt(0)
	buffer_invl2
	buffer_wbinvl1_vol
	v_cmp_eq_u64_e32 vcc, v[8:9], v[6:7]
	s_or_b64 s[8:9], vcc, s[8:9]
	s_andn2_b64 exec, exec, s[8:9]
	s_cbranch_execnz .LBB6_114
; %bb.115:
	s_or_b64 exec, exec, s[8:9]
.LBB6_116:
	s_or_b64 exec, exec, s[6:7]
.LBB6_117:
	s_or_b64 exec, exec, s[4:5]
	s_waitcnt vmcnt(0)
	v_mov_b32_e32 v2, 0
	global_load_dwordx2 v[10:11], v2, s[2:3] offset:40
	global_load_dwordx4 v[4:7], v2, s[2:3]
	v_readfirstlane_b32 s4, v8
	v_readfirstlane_b32 s5, v9
	s_mov_b64 s[6:7], exec
	s_waitcnt vmcnt(1)
	v_readfirstlane_b32 s8, v10
	v_readfirstlane_b32 s9, v11
	s_and_b64 s[8:9], s[4:5], s[8:9]
	s_mul_i32 s10, s9, 24
	s_mul_hi_u32 s11, s8, 24
	s_mul_i32 s12, s8, 24
	s_add_i32 s10, s11, s10
	v_mov_b32_e32 v3, s10
	s_waitcnt vmcnt(0)
	v_add_co_u32_e32 v8, vcc, s12, v4
	v_addc_co_u32_e32 v9, vcc, v5, v3, vcc
	s_and_saveexec_b64 s[10:11], s[0:1]
	s_cbranch_execz .LBB6_119
; %bb.118:
	v_pk_mov_b32 v[10:11], s[6:7], s[6:7] op_sel:[0,1]
	v_mov_b32_e32 v12, 2
	v_mov_b32_e32 v13, 1
	global_store_dwordx4 v[8:9], v[10:13], off offset:8
.LBB6_119:
	s_or_b64 exec, exec, s[10:11]
	s_lshl_b64 s[6:7], s[8:9], 12
	v_mov_b32_e32 v3, s7
	v_add_co_u32_e32 v10, vcc, s6, v6
	v_addc_co_u32_e32 v11, vcc, v7, v3, vcc
	s_movk_i32 s6, 0xff1f
	s_mov_b32 s8, 0
	v_and_or_b32 v0, v0, s6, 32
	v_mov_b32_e32 v3, v2
	v_readfirstlane_b32 s6, v10
	v_readfirstlane_b32 s7, v11
	s_mov_b32 s9, s8
	v_add_co_u32_e32 v6, vcc, v10, v29
	s_mov_b32 s10, s8
	s_mov_b32 s11, s8
	s_nop 0
	global_store_dwordx4 v29, v[0:3], s[6:7]
	v_addc_co_u32_e32 v7, vcc, 0, v11, vcc
	v_pk_mov_b32 v[0:1], s[8:9], s[8:9] op_sel:[0,1]
	v_pk_mov_b32 v[2:3], s[10:11], s[10:11] op_sel:[0,1]
	global_store_dwordx4 v29, v[0:3], s[6:7] offset:16
	global_store_dwordx4 v29, v[0:3], s[6:7] offset:32
	;; [unrolled: 1-line block ×3, first 2 shown]
	s_and_saveexec_b64 s[6:7], s[0:1]
	s_cbranch_execz .LBB6_127
; %bb.120:
	v_mov_b32_e32 v10, 0
	global_load_dwordx2 v[14:15], v10, s[2:3] offset:32 glc
	global_load_dwordx2 v[0:1], v10, s[2:3] offset:40
	v_mov_b32_e32 v12, s4
	v_mov_b32_e32 v13, s5
	s_waitcnt vmcnt(0)
	v_readfirstlane_b32 s8, v0
	v_readfirstlane_b32 s9, v1
	s_and_b64 s[8:9], s[8:9], s[4:5]
	s_mul_i32 s9, s9, 24
	s_mul_hi_u32 s10, s8, 24
	s_mul_i32 s8, s8, 24
	s_add_i32 s9, s10, s9
	v_mov_b32_e32 v0, s9
	v_add_co_u32_e32 v4, vcc, s8, v4
	v_addc_co_u32_e32 v5, vcc, v5, v0, vcc
	global_store_dwordx2 v[4:5], v[14:15], off
	buffer_wbl2
	s_waitcnt vmcnt(0)
	global_atomic_cmpswap_x2 v[2:3], v10, v[12:15], s[2:3] offset:32 glc
	s_waitcnt vmcnt(0)
	v_cmp_ne_u64_e32 vcc, v[2:3], v[14:15]
	s_and_saveexec_b64 s[8:9], vcc
	s_cbranch_execz .LBB6_123
; %bb.121:
	s_mov_b64 s[10:11], 0
.LBB6_122:                              ; =>This Inner Loop Header: Depth=1
	s_sleep 1
	global_store_dwordx2 v[4:5], v[2:3], off
	v_mov_b32_e32 v0, s4
	v_mov_b32_e32 v1, s5
	buffer_wbl2
	s_waitcnt vmcnt(0)
	global_atomic_cmpswap_x2 v[0:1], v10, v[0:3], s[2:3] offset:32 glc
	s_waitcnt vmcnt(0)
	v_cmp_eq_u64_e32 vcc, v[0:1], v[2:3]
	s_or_b64 s[10:11], vcc, s[10:11]
	v_pk_mov_b32 v[2:3], v[0:1], v[0:1] op_sel:[0,1]
	s_andn2_b64 exec, exec, s[10:11]
	s_cbranch_execnz .LBB6_122
.LBB6_123:
	s_or_b64 exec, exec, s[8:9]
	v_mov_b32_e32 v3, 0
	global_load_dwordx2 v[0:1], v3, s[2:3] offset:16
	s_mov_b64 s[8:9], exec
	v_mbcnt_lo_u32_b32 v2, s8, 0
	v_mbcnt_hi_u32_b32 v2, s9, v2
	v_cmp_eq_u32_e32 vcc, 0, v2
	s_and_saveexec_b64 s[10:11], vcc
	s_cbranch_execz .LBB6_125
; %bb.124:
	s_bcnt1_i32_b64 s8, s[8:9]
	v_mov_b32_e32 v2, s8
	buffer_wbl2
	s_waitcnt vmcnt(0)
	global_atomic_add_x2 v[0:1], v[2:3], off offset:8
.LBB6_125:
	s_or_b64 exec, exec, s[10:11]
	s_waitcnt vmcnt(0)
	global_load_dwordx2 v[2:3], v[0:1], off offset:16
	s_waitcnt vmcnt(0)
	v_cmp_eq_u64_e32 vcc, 0, v[2:3]
	s_cbranch_vccnz .LBB6_127
; %bb.126:
	global_load_dword v0, v[0:1], off offset:24
	v_mov_b32_e32 v1, 0
	buffer_wbl2
	s_waitcnt vmcnt(0)
	global_store_dwordx2 v[2:3], v[0:1], off
	v_and_b32_e32 v0, 0xffffff, v0
	v_readfirstlane_b32 m0, v0
	s_sendmsg sendmsg(MSG_INTERRUPT)
.LBB6_127:
	s_or_b64 exec, exec, s[6:7]
	s_branch .LBB6_131
.LBB6_128:                              ;   in Loop: Header=BB6_131 Depth=1
	s_or_b64 exec, exec, s[6:7]
	v_readfirstlane_b32 s6, v0
	s_cmp_eq_u32 s6, 0
	s_cbranch_scc1 .LBB6_130
; %bb.129:                              ;   in Loop: Header=BB6_131 Depth=1
	s_sleep 1
	s_cbranch_execnz .LBB6_131
	s_branch .LBB6_133
.LBB6_130:
	s_branch .LBB6_133
.LBB6_131:                              ; =>This Inner Loop Header: Depth=1
	v_mov_b32_e32 v0, 1
	s_and_saveexec_b64 s[6:7], s[0:1]
	s_cbranch_execz .LBB6_128
; %bb.132:                              ;   in Loop: Header=BB6_131 Depth=1
	global_load_dword v0, v[8:9], off offset:20 glc
	s_waitcnt vmcnt(0)
	buffer_invl2
	buffer_wbinvl1_vol
	v_and_b32_e32 v0, 1, v0
	s_branch .LBB6_128
.LBB6_133:
	global_load_dwordx2 v[2:3], v[6:7], off
	s_and_saveexec_b64 s[6:7], s[0:1]
	s_cbranch_execz .LBB6_136
; %bb.134:
	v_mov_b32_e32 v8, 0
	global_load_dwordx2 v[0:1], v8, s[2:3] offset:40
	global_load_dwordx2 v[10:11], v8, s[2:3] offset:24 glc
	global_load_dwordx2 v[12:13], v8, s[2:3]
	v_mov_b32_e32 v5, s5
	s_mov_b64 s[0:1], 0
	s_waitcnt vmcnt(2)
	v_add_co_u32_e32 v7, vcc, 1, v0
	v_addc_co_u32_e32 v9, vcc, 0, v1, vcc
	v_add_co_u32_e32 v4, vcc, s4, v7
	v_addc_co_u32_e32 v5, vcc, v9, v5, vcc
	v_cmp_eq_u64_e32 vcc, 0, v[4:5]
	v_cndmask_b32_e32 v5, v5, v9, vcc
	v_cndmask_b32_e32 v4, v4, v7, vcc
	v_and_b32_e32 v1, v5, v1
	v_and_b32_e32 v0, v4, v0
	v_mul_lo_u32 v1, v1, 24
	v_mul_hi_u32 v7, v0, 24
	v_mul_lo_u32 v0, v0, 24
	v_add_u32_e32 v1, v7, v1
	s_waitcnt vmcnt(0)
	v_add_co_u32_e32 v0, vcc, v12, v0
	v_addc_co_u32_e32 v1, vcc, v13, v1, vcc
	v_mov_b32_e32 v6, v10
	global_store_dwordx2 v[0:1], v[10:11], off
	v_mov_b32_e32 v7, v11
	buffer_wbl2
	s_waitcnt vmcnt(0)
	global_atomic_cmpswap_x2 v[6:7], v8, v[4:7], s[2:3] offset:24 glc
	s_waitcnt vmcnt(0)
	v_cmp_ne_u64_e32 vcc, v[6:7], v[10:11]
	s_and_b64 exec, exec, vcc
	s_cbranch_execz .LBB6_136
.LBB6_135:                              ; =>This Inner Loop Header: Depth=1
	s_sleep 1
	global_store_dwordx2 v[0:1], v[6:7], off
	buffer_wbl2
	s_waitcnt vmcnt(0)
	global_atomic_cmpswap_x2 v[10:11], v8, v[4:7], s[2:3] offset:24 glc
	s_waitcnt vmcnt(0)
	v_cmp_eq_u64_e32 vcc, v[10:11], v[6:7]
	s_or_b64 s[0:1], vcc, s[0:1]
	v_pk_mov_b32 v[6:7], v[10:11], v[10:11] op_sel:[0,1]
	s_andn2_b64 exec, exec, s[0:1]
	s_cbranch_execnz .LBB6_135
.LBB6_136:
	s_or_b64 exec, exec, s[6:7]
.LBB6_137:
	v_readfirstlane_b32 s0, v34
	v_cmp_eq_u32_e64 s[0:1], s0, v34
	s_waitcnt vmcnt(0)
	v_pk_mov_b32 v[0:1], 0, 0
	s_and_saveexec_b64 s[4:5], s[0:1]
	s_cbranch_execz .LBB6_143
; %bb.138:
	v_mov_b32_e32 v4, 0
	global_load_dwordx2 v[8:9], v4, s[2:3] offset:24 glc
	s_waitcnt vmcnt(0)
	buffer_invl2
	buffer_wbinvl1_vol
	global_load_dwordx2 v[0:1], v4, s[2:3] offset:40
	global_load_dwordx2 v[6:7], v4, s[2:3]
	s_waitcnt vmcnt(1)
	v_and_b32_e32 v0, v0, v8
	v_and_b32_e32 v1, v1, v9
	v_mul_lo_u32 v1, v1, 24
	v_mul_hi_u32 v5, v0, 24
	v_mul_lo_u32 v0, v0, 24
	v_add_u32_e32 v1, v5, v1
	s_waitcnt vmcnt(0)
	v_add_co_u32_e32 v0, vcc, v6, v0
	v_addc_co_u32_e32 v1, vcc, v7, v1, vcc
	global_load_dwordx2 v[6:7], v[0:1], off glc
	s_waitcnt vmcnt(0)
	global_atomic_cmpswap_x2 v[0:1], v4, v[6:9], s[2:3] offset:24 glc
	s_waitcnt vmcnt(0)
	buffer_invl2
	buffer_wbinvl1_vol
	v_cmp_ne_u64_e32 vcc, v[0:1], v[8:9]
	s_and_saveexec_b64 s[6:7], vcc
	s_cbranch_execz .LBB6_142
; %bb.139:
	s_mov_b64 s[8:9], 0
.LBB6_140:                              ; =>This Inner Loop Header: Depth=1
	s_sleep 1
	global_load_dwordx2 v[6:7], v4, s[2:3] offset:40
	global_load_dwordx2 v[10:11], v4, s[2:3]
	v_pk_mov_b32 v[8:9], v[0:1], v[0:1] op_sel:[0,1]
	s_waitcnt vmcnt(1)
	v_and_b32_e32 v0, v6, v8
	s_waitcnt vmcnt(0)
	v_mad_u64_u32 v[0:1], s[10:11], v0, 24, v[10:11]
	v_and_b32_e32 v5, v7, v9
	v_mov_b32_e32 v6, v1
	v_mad_u64_u32 v[6:7], s[10:11], v5, 24, v[6:7]
	v_mov_b32_e32 v1, v6
	global_load_dwordx2 v[6:7], v[0:1], off glc
	s_waitcnt vmcnt(0)
	global_atomic_cmpswap_x2 v[0:1], v4, v[6:9], s[2:3] offset:24 glc
	s_waitcnt vmcnt(0)
	buffer_invl2
	buffer_wbinvl1_vol
	v_cmp_eq_u64_e32 vcc, v[0:1], v[8:9]
	s_or_b64 s[8:9], vcc, s[8:9]
	s_andn2_b64 exec, exec, s[8:9]
	s_cbranch_execnz .LBB6_140
; %bb.141:
	s_or_b64 exec, exec, s[8:9]
.LBB6_142:
	s_or_b64 exec, exec, s[6:7]
.LBB6_143:
	s_or_b64 exec, exec, s[4:5]
	v_mov_b32_e32 v5, 0
	global_load_dwordx2 v[10:11], v5, s[2:3] offset:40
	global_load_dwordx4 v[6:9], v5, s[2:3]
	v_readfirstlane_b32 s4, v0
	v_readfirstlane_b32 s5, v1
	s_mov_b64 s[6:7], exec
	s_waitcnt vmcnt(1)
	v_readfirstlane_b32 s8, v10
	v_readfirstlane_b32 s9, v11
	s_and_b64 s[8:9], s[4:5], s[8:9]
	s_mul_i32 s10, s9, 24
	s_mul_hi_u32 s11, s8, 24
	s_mul_i32 s12, s8, 24
	s_add_i32 s10, s11, s10
	v_mov_b32_e32 v0, s10
	s_waitcnt vmcnt(0)
	v_add_co_u32_e32 v10, vcc, s12, v6
	v_addc_co_u32_e32 v11, vcc, v7, v0, vcc
	s_and_saveexec_b64 s[10:11], s[0:1]
	s_cbranch_execz .LBB6_145
; %bb.144:
	v_pk_mov_b32 v[12:13], s[6:7], s[6:7] op_sel:[0,1]
	v_mov_b32_e32 v14, 2
	v_mov_b32_e32 v15, 1
	global_store_dwordx4 v[10:11], v[12:15], off offset:8
.LBB6_145:
	s_or_b64 exec, exec, s[10:11]
	s_lshl_b64 s[6:7], s[8:9], 12
	v_mov_b32_e32 v1, s7
	v_add_co_u32_e32 v0, vcc, s6, v8
	v_addc_co_u32_e32 v1, vcc, v9, v1, vcc
	s_mov_b32 s8, 0
	s_movk_i32 s6, 0xff1f
	v_and_or_b32 v2, v2, s6, 32
	v_add_co_u32_e32 v8, vcc, v0, v29
	s_waitcnt lgkmcnt(0)
	v_mov_b32_e32 v4, s20
	v_readfirstlane_b32 s6, v0
	v_readfirstlane_b32 s7, v1
	s_mov_b32 s9, s8
	v_addc_co_u32_e32 v9, vcc, 0, v1, vcc
	s_mov_b32 s10, s8
	s_mov_b32 s11, s8
	s_nop 0
	global_store_dwordx4 v29, v[2:5], s[6:7]
	v_pk_mov_b32 v[0:1], s[8:9], s[8:9] op_sel:[0,1]
	v_pk_mov_b32 v[2:3], s[10:11], s[10:11] op_sel:[0,1]
	global_store_dwordx4 v29, v[0:3], s[6:7] offset:16
	global_store_dwordx4 v29, v[0:3], s[6:7] offset:32
	global_store_dwordx4 v29, v[0:3], s[6:7] offset:48
	s_and_saveexec_b64 s[6:7], s[0:1]
	s_cbranch_execz .LBB6_153
; %bb.146:
	v_mov_b32_e32 v12, 0
	global_load_dwordx2 v[16:17], v12, s[2:3] offset:32 glc
	global_load_dwordx2 v[0:1], v12, s[2:3] offset:40
	v_mov_b32_e32 v14, s4
	v_mov_b32_e32 v15, s5
	s_waitcnt vmcnt(0)
	v_readfirstlane_b32 s8, v0
	v_readfirstlane_b32 s9, v1
	s_and_b64 s[8:9], s[8:9], s[4:5]
	s_mul_i32 s9, s9, 24
	s_mul_hi_u32 s10, s8, 24
	s_mul_i32 s8, s8, 24
	s_add_i32 s9, s10, s9
	v_mov_b32_e32 v0, s9
	v_add_co_u32_e32 v4, vcc, s8, v6
	v_addc_co_u32_e32 v5, vcc, v7, v0, vcc
	global_store_dwordx2 v[4:5], v[16:17], off
	buffer_wbl2
	s_waitcnt vmcnt(0)
	global_atomic_cmpswap_x2 v[2:3], v12, v[14:17], s[2:3] offset:32 glc
	s_waitcnt vmcnt(0)
	v_cmp_ne_u64_e32 vcc, v[2:3], v[16:17]
	s_and_saveexec_b64 s[8:9], vcc
	s_cbranch_execz .LBB6_149
; %bb.147:
	s_mov_b64 s[10:11], 0
.LBB6_148:                              ; =>This Inner Loop Header: Depth=1
	s_sleep 1
	global_store_dwordx2 v[4:5], v[2:3], off
	v_mov_b32_e32 v0, s4
	v_mov_b32_e32 v1, s5
	buffer_wbl2
	s_waitcnt vmcnt(0)
	global_atomic_cmpswap_x2 v[0:1], v12, v[0:3], s[2:3] offset:32 glc
	s_waitcnt vmcnt(0)
	v_cmp_eq_u64_e32 vcc, v[0:1], v[2:3]
	s_or_b64 s[10:11], vcc, s[10:11]
	v_pk_mov_b32 v[2:3], v[0:1], v[0:1] op_sel:[0,1]
	s_andn2_b64 exec, exec, s[10:11]
	s_cbranch_execnz .LBB6_148
.LBB6_149:
	s_or_b64 exec, exec, s[8:9]
	v_mov_b32_e32 v3, 0
	global_load_dwordx2 v[0:1], v3, s[2:3] offset:16
	s_mov_b64 s[8:9], exec
	v_mbcnt_lo_u32_b32 v2, s8, 0
	v_mbcnt_hi_u32_b32 v2, s9, v2
	v_cmp_eq_u32_e32 vcc, 0, v2
	s_and_saveexec_b64 s[10:11], vcc
	s_cbranch_execz .LBB6_151
; %bb.150:
	s_bcnt1_i32_b64 s8, s[8:9]
	v_mov_b32_e32 v2, s8
	buffer_wbl2
	s_waitcnt vmcnt(0)
	global_atomic_add_x2 v[0:1], v[2:3], off offset:8
.LBB6_151:
	s_or_b64 exec, exec, s[10:11]
	s_waitcnt vmcnt(0)
	global_load_dwordx2 v[2:3], v[0:1], off offset:16
	s_waitcnt vmcnt(0)
	v_cmp_eq_u64_e32 vcc, 0, v[2:3]
	s_cbranch_vccnz .LBB6_153
; %bb.152:
	global_load_dword v0, v[0:1], off offset:24
	v_mov_b32_e32 v1, 0
	buffer_wbl2
	s_waitcnt vmcnt(0)
	global_store_dwordx2 v[2:3], v[0:1], off
	v_and_b32_e32 v0, 0xffffff, v0
	v_readfirstlane_b32 m0, v0
	s_sendmsg sendmsg(MSG_INTERRUPT)
.LBB6_153:
	s_or_b64 exec, exec, s[6:7]
	s_branch .LBB6_157
.LBB6_154:                              ;   in Loop: Header=BB6_157 Depth=1
	s_or_b64 exec, exec, s[6:7]
	v_readfirstlane_b32 s6, v0
	s_cmp_eq_u32 s6, 0
	s_cbranch_scc1 .LBB6_156
; %bb.155:                              ;   in Loop: Header=BB6_157 Depth=1
	s_sleep 1
	s_cbranch_execnz .LBB6_157
	s_branch .LBB6_159
.LBB6_156:
	s_branch .LBB6_159
.LBB6_157:                              ; =>This Inner Loop Header: Depth=1
	v_mov_b32_e32 v0, 1
	s_and_saveexec_b64 s[6:7], s[0:1]
	s_cbranch_execz .LBB6_154
; %bb.158:                              ;   in Loop: Header=BB6_157 Depth=1
	global_load_dword v0, v[10:11], off offset:20 glc
	s_waitcnt vmcnt(0)
	buffer_invl2
	buffer_wbinvl1_vol
	v_and_b32_e32 v0, 1, v0
	s_branch .LBB6_154
.LBB6_159:
	global_load_dwordx2 v[0:1], v[8:9], off
	s_and_saveexec_b64 s[6:7], s[0:1]
	s_cbranch_execz .LBB6_162
; %bb.160:
	v_mov_b32_e32 v8, 0
	global_load_dwordx2 v[6:7], v8, s[2:3] offset:40
	global_load_dwordx2 v[10:11], v8, s[2:3] offset:24 glc
	global_load_dwordx2 v[12:13], v8, s[2:3]
	v_mov_b32_e32 v3, s5
	s_mov_b64 s[0:1], 0
	s_waitcnt vmcnt(2)
	v_add_co_u32_e32 v5, vcc, 1, v6
	v_addc_co_u32_e32 v9, vcc, 0, v7, vcc
	v_add_co_u32_e32 v2, vcc, s4, v5
	v_addc_co_u32_e32 v3, vcc, v9, v3, vcc
	v_cmp_eq_u64_e32 vcc, 0, v[2:3]
	v_cndmask_b32_e32 v3, v3, v9, vcc
	v_cndmask_b32_e32 v2, v2, v5, vcc
	v_and_b32_e32 v5, v3, v7
	v_and_b32_e32 v6, v2, v6
	v_mul_lo_u32 v5, v5, 24
	v_mul_hi_u32 v7, v6, 24
	v_mul_lo_u32 v6, v6, 24
	v_add_u32_e32 v5, v7, v5
	s_waitcnt vmcnt(0)
	v_add_co_u32_e32 v6, vcc, v12, v6
	v_addc_co_u32_e32 v7, vcc, v13, v5, vcc
	v_mov_b32_e32 v4, v10
	global_store_dwordx2 v[6:7], v[10:11], off
	v_mov_b32_e32 v5, v11
	buffer_wbl2
	s_waitcnt vmcnt(0)
	global_atomic_cmpswap_x2 v[4:5], v8, v[2:5], s[2:3] offset:24 glc
	s_waitcnt vmcnt(0)
	v_cmp_ne_u64_e32 vcc, v[4:5], v[10:11]
	s_and_b64 exec, exec, vcc
	s_cbranch_execz .LBB6_162
.LBB6_161:                              ; =>This Inner Loop Header: Depth=1
	s_sleep 1
	global_store_dwordx2 v[6:7], v[4:5], off
	buffer_wbl2
	s_waitcnt vmcnt(0)
	global_atomic_cmpswap_x2 v[10:11], v8, v[2:5], s[2:3] offset:24 glc
	s_waitcnt vmcnt(0)
	v_cmp_eq_u64_e32 vcc, v[10:11], v[4:5]
	s_or_b64 s[0:1], vcc, s[0:1]
	v_pk_mov_b32 v[4:5], v[10:11], v[10:11] op_sel:[0,1]
	s_andn2_b64 exec, exec, s[0:1]
	s_cbranch_execnz .LBB6_161
.LBB6_162:
	s_or_b64 exec, exec, s[6:7]
	v_readfirstlane_b32 s0, v34
	v_cmp_eq_u32_e64 s[0:1], s0, v34
	v_pk_mov_b32 v[8:9], 0, 0
	s_and_saveexec_b64 s[4:5], s[0:1]
	s_cbranch_execz .LBB6_168
; %bb.163:
	v_mov_b32_e32 v2, 0
	global_load_dwordx2 v[6:7], v2, s[2:3] offset:24 glc
	s_waitcnt vmcnt(0)
	buffer_invl2
	buffer_wbinvl1_vol
	global_load_dwordx2 v[4:5], v2, s[2:3] offset:40
	global_load_dwordx2 v[8:9], v2, s[2:3]
	s_waitcnt vmcnt(1)
	v_and_b32_e32 v3, v4, v6
	v_and_b32_e32 v4, v5, v7
	v_mul_lo_u32 v4, v4, 24
	v_mul_hi_u32 v5, v3, 24
	v_mul_lo_u32 v3, v3, 24
	v_add_u32_e32 v5, v5, v4
	s_waitcnt vmcnt(0)
	v_add_co_u32_e32 v4, vcc, v8, v3
	v_addc_co_u32_e32 v5, vcc, v9, v5, vcc
	global_load_dwordx2 v[4:5], v[4:5], off glc
	s_waitcnt vmcnt(0)
	global_atomic_cmpswap_x2 v[8:9], v2, v[4:7], s[2:3] offset:24 glc
	s_waitcnt vmcnt(0)
	buffer_invl2
	buffer_wbinvl1_vol
	v_cmp_ne_u64_e32 vcc, v[8:9], v[6:7]
	s_and_saveexec_b64 s[6:7], vcc
	s_cbranch_execz .LBB6_167
; %bb.164:
	s_mov_b64 s[8:9], 0
.LBB6_165:                              ; =>This Inner Loop Header: Depth=1
	s_sleep 1
	global_load_dwordx2 v[4:5], v2, s[2:3] offset:40
	global_load_dwordx2 v[10:11], v2, s[2:3]
	v_pk_mov_b32 v[6:7], v[8:9], v[8:9] op_sel:[0,1]
	s_waitcnt vmcnt(1)
	v_and_b32_e32 v4, v4, v6
	v_and_b32_e32 v3, v5, v7
	s_waitcnt vmcnt(0)
	v_mad_u64_u32 v[4:5], s[10:11], v4, 24, v[10:11]
	v_mov_b32_e32 v8, v5
	v_mad_u64_u32 v[8:9], s[10:11], v3, 24, v[8:9]
	v_mov_b32_e32 v5, v8
	global_load_dwordx2 v[4:5], v[4:5], off glc
	s_waitcnt vmcnt(0)
	global_atomic_cmpswap_x2 v[8:9], v2, v[4:7], s[2:3] offset:24 glc
	s_waitcnt vmcnt(0)
	buffer_invl2
	buffer_wbinvl1_vol
	v_cmp_eq_u64_e32 vcc, v[8:9], v[6:7]
	s_or_b64 s[8:9], vcc, s[8:9]
	s_andn2_b64 exec, exec, s[8:9]
	s_cbranch_execnz .LBB6_165
; %bb.166:
	s_or_b64 exec, exec, s[8:9]
.LBB6_167:
	s_or_b64 exec, exec, s[6:7]
.LBB6_168:
	s_or_b64 exec, exec, s[4:5]
	v_mov_b32_e32 v3, 0
	global_load_dwordx2 v[10:11], v3, s[2:3] offset:40
	global_load_dwordx4 v[4:7], v3, s[2:3]
	v_readfirstlane_b32 s4, v8
	v_readfirstlane_b32 s5, v9
	s_mov_b64 s[6:7], exec
	s_waitcnt vmcnt(1)
	v_readfirstlane_b32 s8, v10
	v_readfirstlane_b32 s9, v11
	s_and_b64 s[8:9], s[4:5], s[8:9]
	s_mul_i32 s10, s9, 24
	s_mul_hi_u32 s11, s8, 24
	s_mul_i32 s12, s8, 24
	s_add_i32 s10, s11, s10
	v_mov_b32_e32 v2, s10
	s_waitcnt vmcnt(0)
	v_add_co_u32_e32 v8, vcc, s12, v4
	v_addc_co_u32_e32 v9, vcc, v5, v2, vcc
	s_and_saveexec_b64 s[10:11], s[0:1]
	s_cbranch_execz .LBB6_170
; %bb.169:
	v_pk_mov_b32 v[10:11], s[6:7], s[6:7] op_sel:[0,1]
	v_mov_b32_e32 v12, 2
	v_mov_b32_e32 v13, 1
	global_store_dwordx4 v[8:9], v[10:13], off offset:8
.LBB6_170:
	s_or_b64 exec, exec, s[10:11]
	s_lshl_b64 s[6:7], s[8:9], 12
	v_mov_b32_e32 v2, s7
	v_add_co_u32_e32 v10, vcc, s6, v6
	v_addc_co_u32_e32 v11, vcc, v7, v2, vcc
	s_mov_b32 s8, 0
	s_movk_i32 s6, 0xff1f
	v_and_or_b32 v0, v0, s6, 32
	v_mov_b32_e32 v2, s19
	v_readfirstlane_b32 s6, v10
	v_readfirstlane_b32 s7, v11
	s_mov_b32 s9, s8
	v_add_co_u32_e32 v6, vcc, v10, v29
	s_mov_b32 s10, s8
	s_mov_b32 s11, s8
	s_nop 0
	global_store_dwordx4 v29, v[0:3], s[6:7]
	v_addc_co_u32_e32 v7, vcc, 0, v11, vcc
	v_pk_mov_b32 v[0:1], s[8:9], s[8:9] op_sel:[0,1]
	v_pk_mov_b32 v[2:3], s[10:11], s[10:11] op_sel:[0,1]
	global_store_dwordx4 v29, v[0:3], s[6:7] offset:16
	global_store_dwordx4 v29, v[0:3], s[6:7] offset:32
	;; [unrolled: 1-line block ×3, first 2 shown]
	s_and_saveexec_b64 s[6:7], s[0:1]
	s_cbranch_execz .LBB6_178
; %bb.171:
	v_mov_b32_e32 v10, 0
	global_load_dwordx2 v[14:15], v10, s[2:3] offset:32 glc
	global_load_dwordx2 v[0:1], v10, s[2:3] offset:40
	v_mov_b32_e32 v12, s4
	v_mov_b32_e32 v13, s5
	s_waitcnt vmcnt(0)
	v_readfirstlane_b32 s8, v0
	v_readfirstlane_b32 s9, v1
	s_and_b64 s[8:9], s[8:9], s[4:5]
	s_mul_i32 s9, s9, 24
	s_mul_hi_u32 s10, s8, 24
	s_mul_i32 s8, s8, 24
	s_add_i32 s9, s10, s9
	v_mov_b32_e32 v0, s9
	v_add_co_u32_e32 v4, vcc, s8, v4
	v_addc_co_u32_e32 v5, vcc, v5, v0, vcc
	global_store_dwordx2 v[4:5], v[14:15], off
	buffer_wbl2
	s_waitcnt vmcnt(0)
	global_atomic_cmpswap_x2 v[2:3], v10, v[12:15], s[2:3] offset:32 glc
	s_waitcnt vmcnt(0)
	v_cmp_ne_u64_e32 vcc, v[2:3], v[14:15]
	s_and_saveexec_b64 s[8:9], vcc
	s_cbranch_execz .LBB6_174
; %bb.172:
	s_mov_b64 s[10:11], 0
.LBB6_173:                              ; =>This Inner Loop Header: Depth=1
	s_sleep 1
	global_store_dwordx2 v[4:5], v[2:3], off
	v_mov_b32_e32 v0, s4
	v_mov_b32_e32 v1, s5
	buffer_wbl2
	s_waitcnt vmcnt(0)
	global_atomic_cmpswap_x2 v[0:1], v10, v[0:3], s[2:3] offset:32 glc
	s_waitcnt vmcnt(0)
	v_cmp_eq_u64_e32 vcc, v[0:1], v[2:3]
	s_or_b64 s[10:11], vcc, s[10:11]
	v_pk_mov_b32 v[2:3], v[0:1], v[0:1] op_sel:[0,1]
	s_andn2_b64 exec, exec, s[10:11]
	s_cbranch_execnz .LBB6_173
.LBB6_174:
	s_or_b64 exec, exec, s[8:9]
	v_mov_b32_e32 v3, 0
	global_load_dwordx2 v[0:1], v3, s[2:3] offset:16
	s_mov_b64 s[8:9], exec
	v_mbcnt_lo_u32_b32 v2, s8, 0
	v_mbcnt_hi_u32_b32 v2, s9, v2
	v_cmp_eq_u32_e32 vcc, 0, v2
	s_and_saveexec_b64 s[10:11], vcc
	s_cbranch_execz .LBB6_176
; %bb.175:
	s_bcnt1_i32_b64 s8, s[8:9]
	v_mov_b32_e32 v2, s8
	buffer_wbl2
	s_waitcnt vmcnt(0)
	global_atomic_add_x2 v[0:1], v[2:3], off offset:8
.LBB6_176:
	s_or_b64 exec, exec, s[10:11]
	s_waitcnt vmcnt(0)
	global_load_dwordx2 v[2:3], v[0:1], off offset:16
	s_waitcnt vmcnt(0)
	v_cmp_eq_u64_e32 vcc, 0, v[2:3]
	s_cbranch_vccnz .LBB6_178
; %bb.177:
	global_load_dword v0, v[0:1], off offset:24
	v_mov_b32_e32 v1, 0
	buffer_wbl2
	s_waitcnt vmcnt(0)
	global_store_dwordx2 v[2:3], v[0:1], off
	v_and_b32_e32 v0, 0xffffff, v0
	v_readfirstlane_b32 m0, v0
	s_sendmsg sendmsg(MSG_INTERRUPT)
.LBB6_178:
	s_or_b64 exec, exec, s[6:7]
	s_branch .LBB6_182
.LBB6_179:                              ;   in Loop: Header=BB6_182 Depth=1
	s_or_b64 exec, exec, s[6:7]
	v_readfirstlane_b32 s6, v0
	s_cmp_eq_u32 s6, 0
	s_cbranch_scc1 .LBB6_181
; %bb.180:                              ;   in Loop: Header=BB6_182 Depth=1
	s_sleep 1
	s_cbranch_execnz .LBB6_182
	s_branch .LBB6_184
.LBB6_181:
	s_branch .LBB6_184
.LBB6_182:                              ; =>This Inner Loop Header: Depth=1
	v_mov_b32_e32 v0, 1
	s_and_saveexec_b64 s[6:7], s[0:1]
	s_cbranch_execz .LBB6_179
; %bb.183:                              ;   in Loop: Header=BB6_182 Depth=1
	global_load_dword v0, v[8:9], off offset:20 glc
	s_waitcnt vmcnt(0)
	buffer_invl2
	buffer_wbinvl1_vol
	v_and_b32_e32 v0, 1, v0
	s_branch .LBB6_179
.LBB6_184:
	global_load_dwordx2 v[0:1], v[6:7], off
	s_and_saveexec_b64 s[6:7], s[0:1]
	s_cbranch_execz .LBB6_187
; %bb.185:
	v_mov_b32_e32 v8, 0
	global_load_dwordx2 v[6:7], v8, s[2:3] offset:40
	global_load_dwordx2 v[10:11], v8, s[2:3] offset:24 glc
	global_load_dwordx2 v[12:13], v8, s[2:3]
	v_mov_b32_e32 v3, s5
	s_mov_b64 s[0:1], 0
	s_waitcnt vmcnt(2)
	v_add_co_u32_e32 v5, vcc, 1, v6
	v_addc_co_u32_e32 v9, vcc, 0, v7, vcc
	v_add_co_u32_e32 v2, vcc, s4, v5
	v_addc_co_u32_e32 v3, vcc, v9, v3, vcc
	v_cmp_eq_u64_e32 vcc, 0, v[2:3]
	v_cndmask_b32_e32 v3, v3, v9, vcc
	v_cndmask_b32_e32 v2, v2, v5, vcc
	v_and_b32_e32 v5, v3, v7
	v_and_b32_e32 v6, v2, v6
	v_mul_lo_u32 v5, v5, 24
	v_mul_hi_u32 v7, v6, 24
	v_mul_lo_u32 v6, v6, 24
	v_add_u32_e32 v5, v7, v5
	s_waitcnt vmcnt(0)
	v_add_co_u32_e32 v6, vcc, v12, v6
	v_addc_co_u32_e32 v7, vcc, v13, v5, vcc
	v_mov_b32_e32 v4, v10
	global_store_dwordx2 v[6:7], v[10:11], off
	v_mov_b32_e32 v5, v11
	buffer_wbl2
	s_waitcnt vmcnt(0)
	global_atomic_cmpswap_x2 v[4:5], v8, v[2:5], s[2:3] offset:24 glc
	s_waitcnt vmcnt(0)
	v_cmp_ne_u64_e32 vcc, v[4:5], v[10:11]
	s_and_b64 exec, exec, vcc
	s_cbranch_execz .LBB6_187
.LBB6_186:                              ; =>This Inner Loop Header: Depth=1
	s_sleep 1
	global_store_dwordx2 v[6:7], v[4:5], off
	buffer_wbl2
	s_waitcnt vmcnt(0)
	global_atomic_cmpswap_x2 v[10:11], v8, v[2:5], s[2:3] offset:24 glc
	s_waitcnt vmcnt(0)
	v_cmp_eq_u64_e32 vcc, v[10:11], v[4:5]
	s_or_b64 s[0:1], vcc, s[0:1]
	v_pk_mov_b32 v[4:5], v[10:11], v[10:11] op_sel:[0,1]
	s_andn2_b64 exec, exec, s[0:1]
	s_cbranch_execnz .LBB6_186
.LBB6_187:
	s_or_b64 exec, exec, s[6:7]
	v_readfirstlane_b32 s0, v34
	v_cmp_eq_u32_e64 s[0:1], s0, v34
	v_pk_mov_b32 v[8:9], 0, 0
	s_and_saveexec_b64 s[4:5], s[0:1]
	s_cbranch_execz .LBB6_193
; %bb.188:
	v_mov_b32_e32 v2, 0
	global_load_dwordx2 v[6:7], v2, s[2:3] offset:24 glc
	s_waitcnt vmcnt(0)
	buffer_invl2
	buffer_wbinvl1_vol
	global_load_dwordx2 v[4:5], v2, s[2:3] offset:40
	global_load_dwordx2 v[8:9], v2, s[2:3]
	s_waitcnt vmcnt(1)
	v_and_b32_e32 v3, v4, v6
	v_and_b32_e32 v4, v5, v7
	v_mul_lo_u32 v4, v4, 24
	v_mul_hi_u32 v5, v3, 24
	v_mul_lo_u32 v3, v3, 24
	v_add_u32_e32 v5, v5, v4
	s_waitcnt vmcnt(0)
	v_add_co_u32_e32 v4, vcc, v8, v3
	v_addc_co_u32_e32 v5, vcc, v9, v5, vcc
	global_load_dwordx2 v[4:5], v[4:5], off glc
	s_waitcnt vmcnt(0)
	global_atomic_cmpswap_x2 v[8:9], v2, v[4:7], s[2:3] offset:24 glc
	s_waitcnt vmcnt(0)
	buffer_invl2
	buffer_wbinvl1_vol
	v_cmp_ne_u64_e32 vcc, v[8:9], v[6:7]
	s_and_saveexec_b64 s[6:7], vcc
	s_cbranch_execz .LBB6_192
; %bb.189:
	s_mov_b64 s[8:9], 0
.LBB6_190:                              ; =>This Inner Loop Header: Depth=1
	s_sleep 1
	global_load_dwordx2 v[4:5], v2, s[2:3] offset:40
	global_load_dwordx2 v[10:11], v2, s[2:3]
	v_pk_mov_b32 v[6:7], v[8:9], v[8:9] op_sel:[0,1]
	s_waitcnt vmcnt(1)
	v_and_b32_e32 v4, v4, v6
	v_and_b32_e32 v3, v5, v7
	s_waitcnt vmcnt(0)
	v_mad_u64_u32 v[4:5], s[10:11], v4, 24, v[10:11]
	v_mov_b32_e32 v8, v5
	v_mad_u64_u32 v[8:9], s[10:11], v3, 24, v[8:9]
	v_mov_b32_e32 v5, v8
	global_load_dwordx2 v[4:5], v[4:5], off glc
	s_waitcnt vmcnt(0)
	global_atomic_cmpswap_x2 v[8:9], v2, v[4:7], s[2:3] offset:24 glc
	s_waitcnt vmcnt(0)
	buffer_invl2
	buffer_wbinvl1_vol
	v_cmp_eq_u64_e32 vcc, v[8:9], v[6:7]
	s_or_b64 s[8:9], vcc, s[8:9]
	s_andn2_b64 exec, exec, s[8:9]
	s_cbranch_execnz .LBB6_190
; %bb.191:
	s_or_b64 exec, exec, s[8:9]
.LBB6_192:
	s_or_b64 exec, exec, s[6:7]
.LBB6_193:
	s_or_b64 exec, exec, s[4:5]
	v_mov_b32_e32 v3, 0
	global_load_dwordx2 v[10:11], v3, s[2:3] offset:40
	global_load_dwordx4 v[4:7], v3, s[2:3]
	v_readfirstlane_b32 s4, v8
	v_readfirstlane_b32 s5, v9
	s_mov_b64 s[6:7], exec
	s_waitcnt vmcnt(1)
	v_readfirstlane_b32 s8, v10
	v_readfirstlane_b32 s9, v11
	s_and_b64 s[8:9], s[4:5], s[8:9]
	s_mul_i32 s10, s9, 24
	s_mul_hi_u32 s11, s8, 24
	s_mul_i32 s12, s8, 24
	s_add_i32 s10, s11, s10
	v_mov_b32_e32 v2, s10
	s_waitcnt vmcnt(0)
	v_add_co_u32_e32 v8, vcc, s12, v4
	v_addc_co_u32_e32 v9, vcc, v5, v2, vcc
	s_and_saveexec_b64 s[10:11], s[0:1]
	s_cbranch_execz .LBB6_195
; %bb.194:
	v_pk_mov_b32 v[10:11], s[6:7], s[6:7] op_sel:[0,1]
	v_mov_b32_e32 v12, 2
	v_mov_b32_e32 v13, 1
	global_store_dwordx4 v[8:9], v[10:13], off offset:8
.LBB6_195:
	s_or_b64 exec, exec, s[10:11]
	s_lshl_b64 s[6:7], s[8:9], 12
	v_mov_b32_e32 v2, s7
	v_add_co_u32_e32 v6, vcc, s6, v6
	v_addc_co_u32_e32 v7, vcc, v7, v2, vcc
	s_mov_b32 s8, 0
	s_movk_i32 s6, 0xff1d
	v_and_or_b32 v0, v0, s6, 34
	v_mov_b32_e32 v2, s18
	v_readfirstlane_b32 s6, v6
	v_readfirstlane_b32 s7, v7
	s_mov_b32 s9, s8
	s_mov_b32 s10, s8
	;; [unrolled: 1-line block ×3, first 2 shown]
	s_nop 1
	global_store_dwordx4 v29, v[0:3], s[6:7]
	s_nop 0
	v_pk_mov_b32 v[0:1], s[8:9], s[8:9] op_sel:[0,1]
	v_pk_mov_b32 v[2:3], s[10:11], s[10:11] op_sel:[0,1]
	global_store_dwordx4 v29, v[0:3], s[6:7] offset:16
	global_store_dwordx4 v29, v[0:3], s[6:7] offset:32
	;; [unrolled: 1-line block ×3, first 2 shown]
	s_and_saveexec_b64 s[6:7], s[0:1]
	s_cbranch_execz .LBB6_203
; %bb.196:
	v_mov_b32_e32 v6, 0
	global_load_dwordx2 v[12:13], v6, s[2:3] offset:32 glc
	global_load_dwordx2 v[0:1], v6, s[2:3] offset:40
	v_mov_b32_e32 v10, s4
	v_mov_b32_e32 v11, s5
	s_waitcnt vmcnt(0)
	v_readfirstlane_b32 s8, v0
	v_readfirstlane_b32 s9, v1
	s_and_b64 s[8:9], s[8:9], s[4:5]
	s_mul_i32 s9, s9, 24
	s_mul_hi_u32 s10, s8, 24
	s_mul_i32 s8, s8, 24
	s_add_i32 s9, s10, s9
	v_mov_b32_e32 v0, s9
	v_add_co_u32_e32 v4, vcc, s8, v4
	v_addc_co_u32_e32 v5, vcc, v5, v0, vcc
	global_store_dwordx2 v[4:5], v[12:13], off
	buffer_wbl2
	s_waitcnt vmcnt(0)
	global_atomic_cmpswap_x2 v[2:3], v6, v[10:13], s[2:3] offset:32 glc
	s_waitcnt vmcnt(0)
	v_cmp_ne_u64_e32 vcc, v[2:3], v[12:13]
	s_and_saveexec_b64 s[8:9], vcc
	s_cbranch_execz .LBB6_199
; %bb.197:
	s_mov_b64 s[10:11], 0
.LBB6_198:                              ; =>This Inner Loop Header: Depth=1
	s_sleep 1
	global_store_dwordx2 v[4:5], v[2:3], off
	v_mov_b32_e32 v0, s4
	v_mov_b32_e32 v1, s5
	buffer_wbl2
	s_waitcnt vmcnt(0)
	global_atomic_cmpswap_x2 v[0:1], v6, v[0:3], s[2:3] offset:32 glc
	s_waitcnt vmcnt(0)
	v_cmp_eq_u64_e32 vcc, v[0:1], v[2:3]
	s_or_b64 s[10:11], vcc, s[10:11]
	v_pk_mov_b32 v[2:3], v[0:1], v[0:1] op_sel:[0,1]
	s_andn2_b64 exec, exec, s[10:11]
	s_cbranch_execnz .LBB6_198
.LBB6_199:
	s_or_b64 exec, exec, s[8:9]
	v_mov_b32_e32 v3, 0
	global_load_dwordx2 v[0:1], v3, s[2:3] offset:16
	s_mov_b64 s[8:9], exec
	v_mbcnt_lo_u32_b32 v2, s8, 0
	v_mbcnt_hi_u32_b32 v2, s9, v2
	v_cmp_eq_u32_e32 vcc, 0, v2
	s_and_saveexec_b64 s[10:11], vcc
	s_cbranch_execz .LBB6_201
; %bb.200:
	s_bcnt1_i32_b64 s8, s[8:9]
	v_mov_b32_e32 v2, s8
	buffer_wbl2
	s_waitcnt vmcnt(0)
	global_atomic_add_x2 v[0:1], v[2:3], off offset:8
.LBB6_201:
	s_or_b64 exec, exec, s[10:11]
	s_waitcnt vmcnt(0)
	global_load_dwordx2 v[2:3], v[0:1], off offset:16
	s_waitcnt vmcnt(0)
	v_cmp_eq_u64_e32 vcc, 0, v[2:3]
	s_cbranch_vccnz .LBB6_203
; %bb.202:
	global_load_dword v0, v[0:1], off offset:24
	v_mov_b32_e32 v1, 0
	buffer_wbl2
	s_waitcnt vmcnt(0)
	global_store_dwordx2 v[2:3], v[0:1], off
	v_and_b32_e32 v0, 0xffffff, v0
	v_readfirstlane_b32 m0, v0
	s_sendmsg sendmsg(MSG_INTERRUPT)
.LBB6_203:
	s_or_b64 exec, exec, s[6:7]
	s_branch .LBB6_207
.LBB6_204:                              ;   in Loop: Header=BB6_207 Depth=1
	s_or_b64 exec, exec, s[6:7]
	v_readfirstlane_b32 s6, v0
	s_cmp_eq_u32 s6, 0
	s_cbranch_scc1 .LBB6_206
; %bb.205:                              ;   in Loop: Header=BB6_207 Depth=1
	s_sleep 1
	s_cbranch_execnz .LBB6_207
	s_branch .LBB6_209
.LBB6_206:
	s_branch .LBB6_209
.LBB6_207:                              ; =>This Inner Loop Header: Depth=1
	v_mov_b32_e32 v0, 1
	s_and_saveexec_b64 s[6:7], s[0:1]
	s_cbranch_execz .LBB6_204
; %bb.208:                              ;   in Loop: Header=BB6_207 Depth=1
	global_load_dword v0, v[8:9], off offset:20 glc
	s_waitcnt vmcnt(0)
	buffer_invl2
	buffer_wbinvl1_vol
	v_and_b32_e32 v0, 1, v0
	s_branch .LBB6_204
.LBB6_209:
	s_and_saveexec_b64 s[6:7], s[0:1]
	s_cbranch_execz .LBB6_212
; %bb.210:
	v_mov_b32_e32 v6, 0
	global_load_dwordx2 v[4:5], v6, s[2:3] offset:40
	global_load_dwordx2 v[8:9], v6, s[2:3] offset:24 glc
	global_load_dwordx2 v[10:11], v6, s[2:3]
	v_mov_b32_e32 v1, s5
	s_mov_b64 s[0:1], 0
	s_waitcnt vmcnt(2)
	v_add_co_u32_e32 v3, vcc, 1, v4
	v_addc_co_u32_e32 v7, vcc, 0, v5, vcc
	v_add_co_u32_e32 v0, vcc, s4, v3
	v_addc_co_u32_e32 v1, vcc, v7, v1, vcc
	v_cmp_eq_u64_e32 vcc, 0, v[0:1]
	v_cndmask_b32_e32 v1, v1, v7, vcc
	v_cndmask_b32_e32 v0, v0, v3, vcc
	v_and_b32_e32 v3, v1, v5
	v_and_b32_e32 v4, v0, v4
	v_mul_lo_u32 v3, v3, 24
	v_mul_hi_u32 v5, v4, 24
	v_mul_lo_u32 v4, v4, 24
	v_add_u32_e32 v3, v5, v3
	s_waitcnt vmcnt(0)
	v_add_co_u32_e32 v4, vcc, v10, v4
	v_addc_co_u32_e32 v5, vcc, v11, v3, vcc
	v_mov_b32_e32 v2, v8
	global_store_dwordx2 v[4:5], v[8:9], off
	v_mov_b32_e32 v3, v9
	buffer_wbl2
	s_waitcnt vmcnt(0)
	global_atomic_cmpswap_x2 v[2:3], v6, v[0:3], s[2:3] offset:24 glc
	s_waitcnt vmcnt(0)
	v_cmp_ne_u64_e32 vcc, v[2:3], v[8:9]
	s_and_b64 exec, exec, vcc
	s_cbranch_execz .LBB6_212
.LBB6_211:                              ; =>This Inner Loop Header: Depth=1
	s_sleep 1
	global_store_dwordx2 v[4:5], v[2:3], off
	buffer_wbl2
	s_waitcnt vmcnt(0)
	global_atomic_cmpswap_x2 v[8:9], v6, v[0:3], s[2:3] offset:24 glc
	s_waitcnt vmcnt(0)
	v_cmp_eq_u64_e32 vcc, v[8:9], v[2:3]
	s_or_b64 s[0:1], vcc, s[0:1]
	v_pk_mov_b32 v[2:3], v[8:9], v[8:9] op_sel:[0,1]
	s_andn2_b64 exec, exec, s[0:1]
	s_cbranch_execnz .LBB6_211
.LBB6_212:
	s_endpgm
	.section	.rodata,"a",@progbits
	.p2align	6, 0x0
	.amdhsa_kernel _Z16printStatsKernelPKiS0_S0_
		.amdhsa_group_segment_fixed_size 0
		.amdhsa_private_segment_fixed_size 0
		.amdhsa_kernarg_size 280
		.amdhsa_user_sgpr_count 6
		.amdhsa_user_sgpr_private_segment_buffer 1
		.amdhsa_user_sgpr_dispatch_ptr 0
		.amdhsa_user_sgpr_queue_ptr 0
		.amdhsa_user_sgpr_kernarg_segment_ptr 1
		.amdhsa_user_sgpr_dispatch_id 0
		.amdhsa_user_sgpr_flat_scratch_init 0
		.amdhsa_user_sgpr_kernarg_preload_length 0
		.amdhsa_user_sgpr_kernarg_preload_offset 0
		.amdhsa_user_sgpr_private_segment_size 0
		.amdhsa_uses_dynamic_stack 0
		.amdhsa_system_sgpr_private_segment_wavefront_offset 0
		.amdhsa_system_sgpr_workgroup_id_x 1
		.amdhsa_system_sgpr_workgroup_id_y 0
		.amdhsa_system_sgpr_workgroup_id_z 0
		.amdhsa_system_sgpr_workgroup_info 0
		.amdhsa_system_vgpr_workitem_id 0
		.amdhsa_next_free_vgpr 35
		.amdhsa_next_free_sgpr 22
		.amdhsa_accum_offset 36
		.amdhsa_reserve_vcc 1
		.amdhsa_reserve_flat_scratch 0
		.amdhsa_float_round_mode_32 0
		.amdhsa_float_round_mode_16_64 0
		.amdhsa_float_denorm_mode_32 3
		.amdhsa_float_denorm_mode_16_64 3
		.amdhsa_dx10_clamp 1
		.amdhsa_ieee_mode 1
		.amdhsa_fp16_overflow 0
		.amdhsa_tg_split 0
		.amdhsa_exception_fp_ieee_invalid_op 0
		.amdhsa_exception_fp_denorm_src 0
		.amdhsa_exception_fp_ieee_div_zero 0
		.amdhsa_exception_fp_ieee_overflow 0
		.amdhsa_exception_fp_ieee_underflow 0
		.amdhsa_exception_fp_ieee_inexact 0
		.amdhsa_exception_int_div_zero 0
	.end_amdhsa_kernel
	.text
.Lfunc_end6:
	.size	_Z16printStatsKernelPKiS0_S0_, .Lfunc_end6-_Z16printStatsKernelPKiS0_S0_
                                        ; -- End function
	.section	.AMDGPU.csdata,"",@progbits
; Kernel info:
; codeLenInByte = 8592
; NumSgprs: 26
; NumVgprs: 35
; NumAgprs: 0
; TotalNumVgprs: 35
; ScratchSize: 0
; MemoryBound: 0
; FloatMode: 240
; IeeeMode: 1
; LDSByteSize: 0 bytes/workgroup (compile time only)
; SGPRBlocks: 3
; VGPRBlocks: 4
; NumSGPRsForWavesPerEU: 26
; NumVGPRsForWavesPerEU: 35
; AccumOffset: 36
; Occupancy: 8
; WaveLimiterHint : 1
; COMPUTE_PGM_RSRC2:SCRATCH_EN: 0
; COMPUTE_PGM_RSRC2:USER_SGPR: 6
; COMPUTE_PGM_RSRC2:TRAP_HANDLER: 0
; COMPUTE_PGM_RSRC2:TGID_X_EN: 1
; COMPUTE_PGM_RSRC2:TGID_Y_EN: 0
; COMPUTE_PGM_RSRC2:TGID_Z_EN: 0
; COMPUTE_PGM_RSRC2:TIDIG_COMP_CNT: 0
; COMPUTE_PGM_RSRC3_GFX90A:ACCUM_OFFSET: 8
; COMPUTE_PGM_RSRC3_GFX90A:TG_SPLIT: 0
	.text
	.protected	_Z17updateDeviceStatsiiPiS_ ; -- Begin function _Z17updateDeviceStatsiiPiS_
	.globl	_Z17updateDeviceStatsiiPiS_
	.p2align	8
	.type	_Z17updateDeviceStatsiiPiS_,@function
_Z17updateDeviceStatsiiPiS_:            ; @_Z17updateDeviceStatsiiPiS_
; %bb.0:
	s_load_dword s0, s[4:5], 0x24
	v_sub_u32_e32 v0, 0, v0
	s_waitcnt lgkmcnt(0)
	s_and_b32 s0, s0, 0xffff
	s_mul_i32 s6, s6, s0
	v_cmp_eq_u32_e32 vcc, s6, v0
	s_and_saveexec_b64 s[0:1], vcc
	s_cbranch_execz .LBB7_2
; %bb.1:
	s_load_dwordx2 s[6:7], s[4:5], 0x0
	s_load_dwordx4 s[0:3], s[4:5], 0x8
	v_mov_b32_e32 v0, 0
	s_waitcnt lgkmcnt(0)
	s_add_i32 s4, s6, s7
	v_mov_b32_e32 v1, s6
	s_add_i32 s4, s4, 1
	global_store_dword v0, v1, s[0:1]
	v_mov_b32_e32 v1, s4
	global_store_dword v0, v1, s[2:3]
.LBB7_2:
	s_endpgm
	.section	.rodata,"a",@progbits
	.p2align	6, 0x0
	.amdhsa_kernel _Z17updateDeviceStatsiiPiS_
		.amdhsa_group_segment_fixed_size 0
		.amdhsa_private_segment_fixed_size 0
		.amdhsa_kernarg_size 280
		.amdhsa_user_sgpr_count 6
		.amdhsa_user_sgpr_private_segment_buffer 1
		.amdhsa_user_sgpr_dispatch_ptr 0
		.amdhsa_user_sgpr_queue_ptr 0
		.amdhsa_user_sgpr_kernarg_segment_ptr 1
		.amdhsa_user_sgpr_dispatch_id 0
		.amdhsa_user_sgpr_flat_scratch_init 0
		.amdhsa_user_sgpr_kernarg_preload_length 0
		.amdhsa_user_sgpr_kernarg_preload_offset 0
		.amdhsa_user_sgpr_private_segment_size 0
		.amdhsa_uses_dynamic_stack 0
		.amdhsa_system_sgpr_private_segment_wavefront_offset 0
		.amdhsa_system_sgpr_workgroup_id_x 1
		.amdhsa_system_sgpr_workgroup_id_y 0
		.amdhsa_system_sgpr_workgroup_id_z 0
		.amdhsa_system_sgpr_workgroup_info 0
		.amdhsa_system_vgpr_workitem_id 0
		.amdhsa_next_free_vgpr 2
		.amdhsa_next_free_sgpr 8
		.amdhsa_accum_offset 4
		.amdhsa_reserve_vcc 1
		.amdhsa_reserve_flat_scratch 0
		.amdhsa_float_round_mode_32 0
		.amdhsa_float_round_mode_16_64 0
		.amdhsa_float_denorm_mode_32 3
		.amdhsa_float_denorm_mode_16_64 3
		.amdhsa_dx10_clamp 1
		.amdhsa_ieee_mode 1
		.amdhsa_fp16_overflow 0
		.amdhsa_tg_split 0
		.amdhsa_exception_fp_ieee_invalid_op 0
		.amdhsa_exception_fp_denorm_src 0
		.amdhsa_exception_fp_ieee_div_zero 0
		.amdhsa_exception_fp_ieee_overflow 0
		.amdhsa_exception_fp_ieee_underflow 0
		.amdhsa_exception_fp_ieee_inexact 0
		.amdhsa_exception_int_div_zero 0
	.end_amdhsa_kernel
	.text
.Lfunc_end7:
	.size	_Z17updateDeviceStatsiiPiS_, .Lfunc_end7-_Z17updateDeviceStatsiiPiS_
                                        ; -- End function
	.section	.AMDGPU.csdata,"",@progbits
; Kernel info:
; codeLenInByte = 100
; NumSgprs: 12
; NumVgprs: 2
; NumAgprs: 0
; TotalNumVgprs: 2
; ScratchSize: 0
; MemoryBound: 0
; FloatMode: 240
; IeeeMode: 1
; LDSByteSize: 0 bytes/workgroup (compile time only)
; SGPRBlocks: 1
; VGPRBlocks: 0
; NumSGPRsForWavesPerEU: 12
; NumVGPRsForWavesPerEU: 2
; AccumOffset: 4
; Occupancy: 8
; WaveLimiterHint : 0
; COMPUTE_PGM_RSRC2:SCRATCH_EN: 0
; COMPUTE_PGM_RSRC2:USER_SGPR: 6
; COMPUTE_PGM_RSRC2:TRAP_HANDLER: 0
; COMPUTE_PGM_RSRC2:TGID_X_EN: 1
; COMPUTE_PGM_RSRC2:TGID_Y_EN: 0
; COMPUTE_PGM_RSRC2:TGID_Z_EN: 0
; COMPUTE_PGM_RSRC2:TIDIG_COMP_CNT: 0
; COMPUTE_PGM_RSRC3_GFX90A:ACCUM_OFFSET: 0
; COMPUTE_PGM_RSRC3_GFX90A:TG_SPLIT: 0
	.text
	.p2alignl 6, 3212836864
	.fill 256, 4, 3212836864
	.type	.str,@object                    ; @.str
	.section	.rodata.str1.1,"aMS",@progbits,1
.str:
	.asciz	"-------Original AIG Device-------\n"
	.size	.str, 35

	.type	.str.1,@object                  ; @.str.1
.str.1:
	.asciz	"id\tfanin0\tfanin1\tnumFanouts\n"
	.size	.str.1, 29

	.type	.str.2,@object                  ; @.str.2
.str.2:
	.asciz	"%d\t"
	.size	.str.2, 4

	.type	.str.3,@object                  ; @.str.3
.str.3:
	.asciz	"%s%d\t"
	.size	.str.3, 6

	.type	.str.4,@object                  ; @.str.4
.str.4:
	.asciz	"!"
	.size	.str.4, 2

	.type	.str.5,@object                  ; @.str.5
.str.5:
	.zero	1
	.size	.str.5, 1

	.type	.str.6,@object                  ; @.str.6
.str.6:
	.asciz	"\t"
	.size	.str.6, 2

	.type	.str.7,@object                  ; @.str.7
.str.7:
	.asciz	"%d"
	.size	.str.7, 3

	.type	.str.8,@object                  ; @.str.8
.str.8:
	.asciz	"\n"
	.size	.str.8, 2

	.type	.str.9,@object                  ; @.str.9
.str.9:
	.asciz	"%s%d\n"
	.size	.str.9, 6

	.type	.str.10,@object                 ; @.str.10
.str.10:
	.asciz	"nObjs: %d, nPIs: %d, nPOs:%d, nNodes: %d\n"
	.size	.str.10, 42

	.type	.str.11,@object                 ; @.str.11
.str.11:
	.asciz	"AIG stats: i/o = %d/%d and = %d"
	.size	.str.11, 32

	.type	__hip_cuid_1133f2c8a7706792,@object ; @__hip_cuid_1133f2c8a7706792
	.section	.bss,"aw",@nobits
	.globl	__hip_cuid_1133f2c8a7706792
__hip_cuid_1133f2c8a7706792:
	.byte	0                               ; 0x0
	.size	__hip_cuid_1133f2c8a7706792, 1

	.ident	"AMD clang version 19.0.0git (https://github.com/RadeonOpenCompute/llvm-project roc-6.4.0 25133 c7fe45cf4b819c5991fe208aaa96edf142730f1d)"
	.section	".note.GNU-stack","",@progbits
	.addrsig
	.addrsig_sym __hip_cuid_1133f2c8a7706792
	.amdgpu_metadata
---
amdhsa.kernels:
  - .agpr_count:     0
    .args:
      - .address_space:  global
        .offset:         0
        .size:           8
        .value_kind:     global_buffer
      - .address_space:  global
        .offset:         8
        .size:           8
        .value_kind:     global_buffer
      - .address_space:  global
        .offset:         16
        .size:           8
        .value_kind:     global_buffer
      - .offset:         24
        .size:           4
        .value_kind:     by_value
      - .offset:         28
        .size:           4
        .value_kind:     by_value
      - .offset:         32
        .size:           4
        .value_kind:     hidden_block_count_x
      - .offset:         36
        .size:           4
        .value_kind:     hidden_block_count_y
      - .offset:         40
        .size:           4
        .value_kind:     hidden_block_count_z
      - .offset:         44
        .size:           2
        .value_kind:     hidden_group_size_x
      - .offset:         46
        .size:           2
        .value_kind:     hidden_group_size_y
      - .offset:         48
        .size:           2
        .value_kind:     hidden_group_size_z
      - .offset:         50
        .size:           2
        .value_kind:     hidden_remainder_x
      - .offset:         52
        .size:           2
        .value_kind:     hidden_remainder_y
      - .offset:         54
        .size:           2
        .value_kind:     hidden_remainder_z
      - .offset:         72
        .size:           8
        .value_kind:     hidden_global_offset_x
      - .offset:         80
        .size:           8
        .value_kind:     hidden_global_offset_y
      - .offset:         88
        .size:           8
        .value_kind:     hidden_global_offset_z
      - .offset:         96
        .size:           2
        .value_kind:     hidden_grid_dims
    .group_segment_fixed_size: 0
    .kernarg_segment_align: 8
    .kernarg_segment_size: 288
    .language:       OpenCL C
    .language_version:
      - 2
      - 0
    .max_flat_workgroup_size: 1024
    .name:           _Z18processRwmanFaninsPiS_S_ii
    .private_segment_fixed_size: 0
    .sgpr_count:     14
    .sgpr_spill_count: 0
    .symbol:         _Z18processRwmanFaninsPiS_S_ii.kd
    .uniform_work_group_size: 1
    .uses_dynamic_stack: false
    .vgpr_count:     6
    .vgpr_spill_count: 0
    .wavefront_size: 64
  - .agpr_count:     0
    .args:
      - .address_space:  global
        .offset:         0
        .size:           8
        .value_kind:     global_buffer
      - .address_space:  global
        .offset:         8
        .size:           8
        .value_kind:     global_buffer
      - .offset:         16
        .size:           4
        .value_kind:     by_value
      - .offset:         24
        .size:           4
        .value_kind:     hidden_block_count_x
      - .offset:         28
        .size:           4
        .value_kind:     hidden_block_count_y
      - .offset:         32
        .size:           4
        .value_kind:     hidden_block_count_z
      - .offset:         36
        .size:           2
        .value_kind:     hidden_group_size_x
      - .offset:         38
        .size:           2
        .value_kind:     hidden_group_size_y
      - .offset:         40
        .size:           2
        .value_kind:     hidden_group_size_z
      - .offset:         42
        .size:           2
        .value_kind:     hidden_remainder_x
      - .offset:         44
        .size:           2
        .value_kind:     hidden_remainder_y
      - .offset:         46
        .size:           2
        .value_kind:     hidden_remainder_z
      - .offset:         64
        .size:           8
        .value_kind:     hidden_global_offset_x
      - .offset:         72
        .size:           8
        .value_kind:     hidden_global_offset_y
      - .offset:         80
        .size:           8
        .value_kind:     hidden_global_offset_z
      - .offset:         88
        .size:           2
        .value_kind:     hidden_grid_dims
    .group_segment_fixed_size: 0
    .kernarg_segment_align: 8
    .kernarg_segment_size: 280
    .language:       OpenCL C
    .language_version:
      - 2
      - 0
    .max_flat_workgroup_size: 1024
    .name:           _Z16processRwmanOutsPiS_i
    .private_segment_fixed_size: 0
    .sgpr_count:     11
    .sgpr_spill_count: 0
    .symbol:         _Z16processRwmanOutsPiS_i.kd
    .uniform_work_group_size: 1
    .uses_dynamic_stack: false
    .vgpr_count:     4
    .vgpr_spill_count: 0
    .wavefront_size: 64
  - .agpr_count:     0
    .args:
      - .address_space:  global
        .offset:         0
        .size:           8
        .value_kind:     global_buffer
      - .address_space:  global
        .offset:         8
        .size:           8
        .value_kind:     global_buffer
      - .address_space:  global
        .offset:         16
        .size:           8
        .value_kind:     global_buffer
      - .address_space:  global
        .offset:         24
        .size:           8
        .value_kind:     global_buffer
      - .address_space:  global
        .offset:         32
        .size:           8
        .value_kind:     global_buffer
      - .address_space:  global
        .offset:         40
        .size:           8
        .value_kind:     global_buffer
      - .address_space:  global
        .offset:         48
        .size:           8
        .value_kind:     global_buffer
      - .address_space:  global
        .offset:         56
        .size:           8
        .value_kind:     global_buffer
      - .address_space:  global
        .offset:         64
        .size:           8
        .value_kind:     global_buffer
      - .offset:         72
        .size:           4
        .value_kind:     hidden_block_count_x
      - .offset:         76
        .size:           4
        .value_kind:     hidden_block_count_y
      - .offset:         80
        .size:           4
        .value_kind:     hidden_block_count_z
      - .offset:         84
        .size:           2
        .value_kind:     hidden_group_size_x
      - .offset:         86
        .size:           2
        .value_kind:     hidden_group_size_y
      - .offset:         88
        .size:           2
        .value_kind:     hidden_group_size_z
      - .offset:         90
        .size:           2
        .value_kind:     hidden_remainder_x
      - .offset:         92
        .size:           2
        .value_kind:     hidden_remainder_y
      - .offset:         94
        .size:           2
        .value_kind:     hidden_remainder_z
      - .offset:         112
        .size:           8
        .value_kind:     hidden_global_offset_x
      - .offset:         120
        .size:           8
        .value_kind:     hidden_global_offset_y
      - .offset:         128
        .size:           8
        .value_kind:     hidden_global_offset_z
      - .offset:         136
        .size:           2
        .value_kind:     hidden_grid_dims
      - .offset:         152
        .size:           8
        .value_kind:     hidden_hostcall_buffer
    .group_segment_fixed_size: 0
    .kernarg_segment_align: 8
    .kernarg_segment_size: 328
    .language:       OpenCL C
    .language_version:
      - 2
      - 0
    .max_flat_workgroup_size: 1024
    .name:           _Z16showDeviceKernelPiS_S_S_S_S_S_S_S_
    .private_segment_fixed_size: 0
    .sgpr_count:     69
    .sgpr_spill_count: 0
    .symbol:         _Z16showDeviceKernelPiS_S_S_S_S_S_S_S_.kd
    .uniform_work_group_size: 1
    .uses_dynamic_stack: false
    .vgpr_count:     52
    .vgpr_spill_count: 0
    .wavefront_size: 64
  - .agpr_count:     0
    .args:
      - .address_space:  global
        .offset:         0
        .size:           8
        .value_kind:     global_buffer
      - .address_space:  global
        .offset:         8
        .size:           8
        .value_kind:     global_buffer
      - .address_space:  global
        .offset:         16
        .size:           8
        .value_kind:     global_buffer
      - .offset:         24
        .size:           4
        .value_kind:     hidden_block_count_x
      - .offset:         28
        .size:           4
        .value_kind:     hidden_block_count_y
      - .offset:         32
        .size:           4
        .value_kind:     hidden_block_count_z
      - .offset:         36
        .size:           2
        .value_kind:     hidden_group_size_x
      - .offset:         38
        .size:           2
        .value_kind:     hidden_group_size_y
      - .offset:         40
        .size:           2
        .value_kind:     hidden_group_size_z
      - .offset:         42
        .size:           2
        .value_kind:     hidden_remainder_x
      - .offset:         44
        .size:           2
        .value_kind:     hidden_remainder_y
      - .offset:         46
        .size:           2
        .value_kind:     hidden_remainder_z
      - .offset:         64
        .size:           8
        .value_kind:     hidden_global_offset_x
      - .offset:         72
        .size:           8
        .value_kind:     hidden_global_offset_y
      - .offset:         80
        .size:           8
        .value_kind:     hidden_global_offset_z
      - .offset:         88
        .size:           2
        .value_kind:     hidden_grid_dims
      - .offset:         104
        .size:           8
        .value_kind:     hidden_hostcall_buffer
    .group_segment_fixed_size: 0
    .kernarg_segment_align: 8
    .kernarg_segment_size: 280
    .language:       OpenCL C
    .language_version:
      - 2
      - 0
    .max_flat_workgroup_size: 1024
    .name:           _Z16printStatsKernelPKiS0_S0_
    .private_segment_fixed_size: 0
    .sgpr_count:     26
    .sgpr_spill_count: 0
    .symbol:         _Z16printStatsKernelPKiS0_S0_.kd
    .uniform_work_group_size: 1
    .uses_dynamic_stack: false
    .vgpr_count:     35
    .vgpr_spill_count: 0
    .wavefront_size: 64
  - .agpr_count:     0
    .args:
      - .offset:         0
        .size:           4
        .value_kind:     by_value
      - .offset:         4
        .size:           4
        .value_kind:     by_value
      - .address_space:  global
        .offset:         8
        .size:           8
        .value_kind:     global_buffer
      - .address_space:  global
        .offset:         16
        .size:           8
        .value_kind:     global_buffer
      - .offset:         24
        .size:           4
        .value_kind:     hidden_block_count_x
      - .offset:         28
        .size:           4
        .value_kind:     hidden_block_count_y
      - .offset:         32
        .size:           4
        .value_kind:     hidden_block_count_z
      - .offset:         36
        .size:           2
        .value_kind:     hidden_group_size_x
      - .offset:         38
        .size:           2
        .value_kind:     hidden_group_size_y
      - .offset:         40
        .size:           2
        .value_kind:     hidden_group_size_z
      - .offset:         42
        .size:           2
        .value_kind:     hidden_remainder_x
      - .offset:         44
        .size:           2
        .value_kind:     hidden_remainder_y
      - .offset:         46
        .size:           2
        .value_kind:     hidden_remainder_z
      - .offset:         64
        .size:           8
        .value_kind:     hidden_global_offset_x
      - .offset:         72
        .size:           8
        .value_kind:     hidden_global_offset_y
      - .offset:         80
        .size:           8
        .value_kind:     hidden_global_offset_z
      - .offset:         88
        .size:           2
        .value_kind:     hidden_grid_dims
    .group_segment_fixed_size: 0
    .kernarg_segment_align: 8
    .kernarg_segment_size: 280
    .language:       OpenCL C
    .language_version:
      - 2
      - 0
    .max_flat_workgroup_size: 1024
    .name:           _Z17updateDeviceStatsiiPiS_
    .private_segment_fixed_size: 0
    .sgpr_count:     12
    .sgpr_spill_count: 0
    .symbol:         _Z17updateDeviceStatsiiPiS_.kd
    .uniform_work_group_size: 1
    .uses_dynamic_stack: false
    .vgpr_count:     2
    .vgpr_spill_count: 0
    .wavefront_size: 64
amdhsa.target:   amdgcn-amd-amdhsa--gfx90a
amdhsa.version:
  - 1
  - 2
...

	.end_amdgpu_metadata
